;; amdgpu-corpus repo=ROCm/rocFFT kind=compiled arch=gfx906 opt=O3
	.text
	.amdgcn_target "amdgcn-amd-amdhsa--gfx906"
	.amdhsa_code_object_version 6
	.protected	bluestein_single_fwd_len672_dim1_sp_op_CI_CI ; -- Begin function bluestein_single_fwd_len672_dim1_sp_op_CI_CI
	.globl	bluestein_single_fwd_len672_dim1_sp_op_CI_CI
	.p2align	8
	.type	bluestein_single_fwd_len672_dim1_sp_op_CI_CI,@function
bluestein_single_fwd_len672_dim1_sp_op_CI_CI: ; @bluestein_single_fwd_len672_dim1_sp_op_CI_CI
; %bb.0:
	s_load_dwordx4 s[16:19], s[4:5], 0x28
	v_mul_u32_u24_e32 v1, 0x493, v0
	v_add_u32_sdwa v76, s6, v1 dst_sel:DWORD dst_unused:UNUSED_PAD src0_sel:DWORD src1_sel:WORD_1
	v_mov_b32_e32 v77, 0
	s_waitcnt lgkmcnt(0)
	v_cmp_gt_u64_e32 vcc, s[16:17], v[76:77]
	s_and_saveexec_b64 s[0:1], vcc
	s_cbranch_execz .LBB0_10
; %bb.1:
	s_load_dwordx4 s[0:3], s[4:5], 0x18
	s_load_dwordx4 s[12:15], s[4:5], 0x0
	v_mov_b32_e32 v2, 56
	v_mul_lo_u16_sdwa v1, v1, v2 dst_sel:DWORD dst_unused:UNUSED_PAD src0_sel:WORD_1 src1_sel:DWORD
	v_sub_u16_e32 v109, v0, v1
	s_waitcnt lgkmcnt(0)
	s_load_dwordx4 s[8:11], s[0:1], 0x0
	v_lshlrev_b32_e32 v107, 3, v109
	v_or_b32_e32 v108, 0x1c0, v109
	global_load_dwordx2 v[85:86], v107, s[12:13]
	v_add_u32_e32 v138, 0x800, v107
	s_waitcnt lgkmcnt(0)
	v_mad_u64_u32 v[0:1], s[0:1], s10, v76, 0
	v_mad_u64_u32 v[2:3], s[0:1], s8, v109, 0
	s_mul_hi_u32 s7, s8, 0xfffff740
	s_mul_i32 s6, s9, 0xfffff740
	v_mad_u64_u32 v[4:5], s[0:1], s11, v76, v[1:2]
	s_sub_i32 s7, s7, s8
	s_add_i32 s10, s7, s6
	v_mad_u64_u32 v[5:6], s[0:1], s9, v109, v[3:4]
	v_mov_b32_e32 v1, v4
	v_lshlrev_b64 v[0:1], 3, v[0:1]
	v_mov_b32_e32 v6, s19
	v_mov_b32_e32 v3, v5
	v_add_co_u32_e32 v16, vcc, s18, v0
	v_addc_co_u32_e32 v17, vcc, v6, v1, vcc
	v_lshlrev_b64 v[0:1], 3, v[2:3]
	v_mov_b32_e32 v2, s13
	v_add_co_u32_e32 v0, vcc, v16, v0
	v_addc_co_u32_e32 v1, vcc, v17, v1, vcc
	v_add_co_u32_e32 v22, vcc, s12, v107
	s_mul_i32 s0, s9, 0xa80
	s_mul_hi_u32 s1, s8, 0xa80
	v_addc_co_u32_e32 v23, vcc, 0, v2, vcc
	s_add_i32 s0, s1, s0
	s_mul_i32 s1, s8, 0xa80
	v_mov_b32_e32 v3, s0
	v_add_co_u32_e32 v2, vcc, s1, v0
	v_addc_co_u32_e32 v3, vcc, v1, v3, vcc
	s_mul_i32 s11, s8, 0xfffff740
	v_mov_b32_e32 v5, s10
	v_add_co_u32_e32 v4, vcc, s11, v2
	v_addc_co_u32_e32 v5, vcc, v3, v5, vcc
	v_mov_b32_e32 v7, s0
	v_add_co_u32_e32 v6, vcc, s1, v4
	v_addc_co_u32_e32 v7, vcc, v5, v7, vcc
	global_load_dwordx2 v[8:9], v[0:1], off
	global_load_dwordx2 v[10:11], v[2:3], off
	global_load_dwordx2 v[12:13], v[4:5], off
	global_load_dwordx2 v[14:15], v[6:7], off
	v_mad_u64_u32 v[0:1], s[6:7], s8, v108, 0
	v_mov_b32_e32 v3, s10
	v_mov_b32_e32 v4, 0x1c0
	v_mad_u64_u32 v[1:2], s[6:7], s9, v108, v[1:2]
	v_add_co_u32_e32 v2, vcc, s11, v6
	v_addc_co_u32_e32 v3, vcc, v7, v3, vcc
	v_lshlrev_b64 v[0:1], 3, v[0:1]
	v_mad_u64_u32 v[4:5], s[6:7], s8, v4, v[2:3]
	global_load_dwordx2 v[87:88], v107, s[12:13] offset:2688
	global_load_dwordx2 v[81:82], v107, s[12:13] offset:3136
	v_add_co_u32_e32 v0, vcc, v16, v0
	v_addc_co_u32_e32 v1, vcc, v17, v1, vcc
	global_load_dwordx2 v[6:7], v[2:3], off
	global_load_dwordx2 v[16:17], v[0:1], off
	s_mul_i32 s6, s9, 0x1c0
	global_load_dwordx2 v[89:90], v107, s[12:13] offset:448
	v_add_u32_e32 v5, s6, v5
	v_mov_b32_e32 v3, s0
	v_add_co_u32_e32 v2, vcc, s1, v4
	v_addc_co_u32_e32 v3, vcc, v5, v3, vcc
	global_load_dwordx2 v[0:1], v[4:5], off
	global_load_dwordx2 v[83:84], v107, s[12:13] offset:896
	global_load_dwordx2 v[77:78], v107, s[12:13] offset:1344
	s_nop 0
	global_load_dwordx2 v[4:5], v[2:3], off
	global_load_dwordx2 v[79:80], v107, s[12:13] offset:3584
	global_load_dwordx2 v[74:75], v107, s[12:13] offset:4032
	v_mov_b32_e32 v18, s10
	v_add_co_u32_e32 v2, vcc, s11, v2
	v_addc_co_u32_e32 v3, vcc, v3, v18, vcc
	global_load_dwordx2 v[18:19], v[2:3], off
	global_load_dwordx2 v[72:73], v107, s[12:13] offset:1792
	v_mov_b32_e32 v20, s0
	v_add_co_u32_e32 v2, vcc, s1, v2
	v_addc_co_u32_e32 v3, vcc, v3, v20, vcc
	s_movk_i32 s6, 0x1000
	v_add_co_u32_e32 v22, vcc, s6, v22
	v_addc_co_u32_e32 v23, vcc, 0, v23, vcc
	global_load_dwordx2 v[20:21], v[2:3], off
	global_load_dwordx2 v[70:71], v[22:23], off offset:384
	v_mov_b32_e32 v24, s10
	v_add_co_u32_e32 v2, vcc, s11, v2
	v_addc_co_u32_e32 v3, vcc, v3, v24, vcc
	global_load_dwordx2 v[24:25], v[2:3], off
	global_load_dwordx2 v[68:69], v107, s[12:13] offset:2240
	v_mov_b32_e32 v26, s0
	v_add_co_u32_e32 v2, vcc, s1, v2
	v_addc_co_u32_e32 v3, vcc, v3, v26, vcc
	global_load_dwordx2 v[26:27], v[2:3], off
	global_load_dwordx2 v[66:67], v[22:23], off offset:832
	v_add_u32_e32 v139, 0x400, v107
	s_load_dwordx4 s[8:11], s[2:3], 0x0
	v_lshlrev_b32_e32 v110, 4, v109
	s_movk_i32 s0, 0x7c
	v_add_u32_e32 v145, 0x70, v109
	v_add_u32_e32 v146, 0xa8, v109
	;; [unrolled: 1-line block ×3, first 2 shown]
	s_load_dwordx2 s[2:3], s[4:5], 0x38
                                        ; implicit-def: $vgpr105
                                        ; implicit-def: $vgpr64
	s_waitcnt vmcnt(22)
	v_mul_f32_e32 v2, v9, v86
	v_mul_f32_e32 v3, v8, v86
	v_fmac_f32_e32 v2, v8, v85
	v_fma_f32 v3, v9, v85, -v3
	s_waitcnt vmcnt(18)
	v_mul_f32_e32 v8, v11, v88
	v_mul_f32_e32 v9, v10, v88
	v_fmac_f32_e32 v8, v10, v87
	v_fma_f32 v9, v11, v87, -v9
	ds_write_b64 v107, v[8:9] offset:2688
	v_add_co_u32_e32 v8, vcc, 56, v109
	v_lshlrev_b32_e32 v111, 4, v8
	s_waitcnt vmcnt(14)
	v_mul_f32_e32 v9, v13, v90
	v_mul_f32_e32 v10, v12, v90
	v_fmac_f32_e32 v9, v12, v89
	v_fma_f32 v10, v13, v89, -v10
	ds_write2_b64 v107, v[2:3], v[9:10] offset1:56
	v_mul_f32_e32 v2, v15, v82
	s_waitcnt vmcnt(12)
	v_mul_f32_e32 v9, v7, v84
	v_fmac_f32_e32 v9, v6, v83
	v_mul_f32_e32 v6, v6, v84
	v_mul_f32_e32 v3, v14, v82
	v_fma_f32 v10, v7, v83, -v6
	s_waitcnt vmcnt(9)
	v_mul_f32_e32 v6, v17, v80
	v_mul_f32_e32 v7, v16, v80
	v_fmac_f32_e32 v2, v14, v81
	v_fma_f32 v3, v15, v81, -v3
	v_fmac_f32_e32 v6, v16, v79
	v_fma_f32 v7, v17, v79, -v7
	ds_write2_b64 v138, v[2:3], v[6:7] offset0:136 offset1:192
	v_mul_f32_e32 v2, v1, v78
	v_fmac_f32_e32 v2, v0, v77
	v_mul_f32_e32 v0, v0, v78
	v_fma_f32 v3, v1, v77, -v0
	s_waitcnt vmcnt(8)
	v_mul_f32_e32 v0, v4, v75
	ds_write2_b64 v107, v[9:10], v[2:3] offset0:112 offset1:168
	v_mul_f32_e32 v1, v5, v75
	v_fma_f32 v2, v5, v74, -v0
	s_waitcnt vmcnt(4)
	v_mul_f32_e32 v5, v21, v71
	v_mul_f32_e32 v6, v20, v71
	v_fmac_f32_e32 v1, v4, v74
	v_fmac_f32_e32 v5, v20, v70
	v_fma_f32 v6, v21, v70, -v6
	v_add_u32_e32 v9, 0xc00, v107
	v_mul_f32_e32 v3, v19, v73
	v_mul_f32_e32 v4, v18, v73
	ds_write2_b64 v9, v[1:2], v[5:6] offset0:120 offset1:176
	s_waitcnt vmcnt(2)
	v_mul_f32_e32 v1, v25, v69
	v_mul_f32_e32 v2, v24, v69
	v_fmac_f32_e32 v3, v18, v72
	v_fma_f32 v4, v19, v72, -v4
	v_fmac_f32_e32 v1, v24, v68
	v_fma_f32 v2, v25, v68, -v2
	ds_write2_b64 v139, v[3:4], v[1:2] offset0:96 offset1:152
	s_waitcnt vmcnt(0)
	v_mul_f32_e32 v1, v27, v67
	v_mul_f32_e32 v2, v26, v67
	v_fmac_f32_e32 v1, v26, v66
	v_fma_f32 v2, v27, v66, -v2
	v_add_u32_e32 v10, 0x1000, v107
	ds_write_b64 v107, v[1:2] offset:4928
	s_waitcnt lgkmcnt(0)
	; wave barrier
	s_waitcnt lgkmcnt(0)
	ds_read2_b64 v[1:4], v107 offset1:56
	ds_read2_b64 v[11:14], v138 offset0:80 offset1:136
	ds_read2_b64 v[15:18], v107 offset0:112 offset1:168
	;; [unrolled: 1-line block ×5, first 2 shown]
	v_lshlrev_b32_e32 v0, 1, v109
	s_waitcnt lgkmcnt(4)
	v_sub_f32_e32 v33, v1, v11
	v_sub_f32_e32 v34, v2, v12
	;; [unrolled: 1-line block ×4, first 2 shown]
	s_waitcnt lgkmcnt(0)
	v_sub_f32_e32 v37, v23, v27
	v_sub_f32_e32 v38, v24, v28
	v_fma_f32 v31, v1, 2.0, -v33
	v_fma_f32 v32, v2, 2.0, -v34
	;; [unrolled: 1-line block ×4, first 2 shown]
	v_sub_f32_e32 v13, v15, v19
	v_sub_f32_e32 v14, v16, v20
	;; [unrolled: 1-line block ×4, first 2 shown]
	v_fma_f32 v35, v23, 2.0, -v37
	v_fma_f32 v36, v24, 2.0, -v38
	v_sub_f32_e32 v23, v25, v29
	v_sub_f32_e32 v24, v26, v30
	v_lshlrev_b32_e32 v1, 3, v0
	v_and_b32_e32 v7, 1, v109
	v_fma_f32 v11, v15, 2.0, -v13
	v_fma_f32 v12, v16, 2.0, -v14
	;; [unrolled: 1-line block ×6, first 2 shown]
	s_waitcnt lgkmcnt(0)
	; wave barrier
	ds_write_b128 v110, v[31:34]
	ds_write_b128 v111, v[3:6]
	ds_write_b128 v110, v[11:14] offset:1792
	ds_write_b128 v110, v[17:20] offset:2688
	;; [unrolled: 1-line block ×4, first 2 shown]
	v_lshlrev_b32_e32 v1, 3, v7
	s_waitcnt lgkmcnt(0)
	; wave barrier
	s_waitcnt lgkmcnt(0)
	global_load_dwordx2 v[91:92], v1, s[14:15]
	ds_read2_b64 v[11:14], v107 offset1:56
	ds_read2_b64 v[15:18], v138 offset0:80 offset1:136
	ds_read2_b64 v[19:22], v107 offset0:112 offset1:168
	;; [unrolled: 1-line block ×5, first 2 shown]
	v_lshlrev_b32_e32 v4, 1, v8
	v_lshlrev_b32_e32 v3, 1, v145
	s_waitcnt lgkmcnt(0)
	; wave barrier
	s_waitcnt lgkmcnt(0)
	v_lshlrev_b32_e32 v2, 1, v146
	v_add_u32_e32 v147, 0x1c0, v0
	v_lshlrev_b32_e32 v1, 1, v144
	s_waitcnt vmcnt(0)
	v_mul_f32_e32 v5, v16, v92
	v_fma_f32 v5, v15, v91, -v5
	v_mul_f32_e32 v6, v15, v92
	v_mul_f32_e32 v15, v18, v92
	v_fmac_f32_e32 v6, v16, v91
	v_fma_f32 v15, v17, v91, -v15
	v_mul_f32_e32 v16, v17, v92
	v_mul_f32_e32 v17, v24, v92
	v_fmac_f32_e32 v16, v18, v91
	;; [unrolled: 4-line block ×5, first 2 shown]
	v_fma_f32 v31, v33, v91, -v31
	v_mul_f32_e32 v32, v33, v92
	v_sub_f32_e32 v5, v11, v5
	v_sub_f32_e32 v6, v12, v6
	v_and_or_b32 v33, v0, s0, v7
	v_fma_f32 v11, v11, 2.0, -v5
	v_fma_f32 v12, v12, 2.0, -v6
	v_lshlrev_b32_e32 v112, 3, v33
	s_movk_i32 s0, 0xfc
	ds_write2_b64 v112, v[11:12], v[5:6] offset1:2
	v_and_or_b32 v5, v4, s0, v7
	s_movk_i32 s0, 0x1fc
	v_lshlrev_b32_e32 v113, 3, v5
	v_and_or_b32 v5, v3, s0, v7
	v_lshlrev_b32_e32 v114, 3, v5
	v_and_or_b32 v5, v2, s0, v7
	s_movk_i32 s0, 0x3fc
	v_fmac_f32_e32 v32, v34, v91
	v_lshlrev_b32_e32 v115, 3, v5
	v_and_or_b32 v5, v147, s0, v7
	s_movk_i32 s0, 0x2fc
	v_sub_f32_e32 v15, v13, v15
	v_sub_f32_e32 v16, v14, v16
	;; [unrolled: 1-line block ×10, first 2 shown]
	v_lshlrev_b32_e32 v116, 3, v5
	v_and_or_b32 v5, v1, s0, v7
	v_and_b32_e32 v7, 3, v109
	v_fma_f32 v13, v13, 2.0, -v15
	v_fma_f32 v14, v14, 2.0, -v16
	;; [unrolled: 1-line block ×10, first 2 shown]
	v_lshlrev_b32_e32 v117, 3, v5
	v_lshlrev_b32_e32 v5, 3, v7
	ds_write2_b64 v113, v[13:14], v[15:16] offset1:2
	ds_write2_b64 v114, v[19:20], v[17:18] offset1:2
	;; [unrolled: 1-line block ×5, first 2 shown]
	s_waitcnt lgkmcnt(0)
	; wave barrier
	s_waitcnt lgkmcnt(0)
	global_load_dwordx2 v[93:94], v5, s[14:15] offset:16
	ds_read2_b64 v[11:14], v138 offset0:80 offset1:136
	ds_read2_b64 v[15:18], v107 offset1:56
	ds_read2_b64 v[19:22], v107 offset0:112 offset1:168
	ds_read2_b64 v[23:26], v138 offset0:192 offset1:248
	;; [unrolled: 1-line block ×3, first 2 shown]
	s_movk_i32 s0, 0x78
	s_waitcnt vmcnt(0) lgkmcnt(4)
	v_mul_f32_e32 v5, v12, v94
	v_fma_f32 v5, v11, v93, -v5
	v_mul_f32_e32 v6, v11, v94
	v_mul_f32_e32 v11, v14, v94
	v_fmac_f32_e32 v6, v12, v93
	v_fma_f32 v11, v13, v93, -v11
	v_mul_f32_e32 v12, v13, v94
	s_waitcnt lgkmcnt(1)
	v_mul_f32_e32 v13, v24, v94
	v_fmac_f32_e32 v12, v14, v93
	v_fma_f32 v13, v23, v93, -v13
	v_mul_f32_e32 v14, v23, v94
	v_mul_f32_e32 v23, v26, v94
	v_fma_f32 v31, v25, v93, -v23
	s_waitcnt lgkmcnt(0)
	v_mul_f32_e32 v23, v28, v94
	v_fmac_f32_e32 v14, v24, v93
	v_mul_f32_e32 v32, v25, v94
	v_fma_f32 v33, v27, v93, -v23
	v_mul_f32_e32 v23, v30, v94
	v_fmac_f32_e32 v32, v26, v93
	v_fma_f32 v35, v29, v93, -v23
	v_sub_f32_e32 v23, v17, v11
	v_sub_f32_e32 v24, v18, v12
	;; [unrolled: 1-line block ×4, first 2 shown]
	ds_read2_b64 v[11:14], v139 offset0:96 offset1:152
	v_mul_f32_e32 v36, v29, v94
	v_sub_f32_e32 v5, v15, v5
	v_sub_f32_e32 v6, v16, v6
	v_fma_f32 v15, v15, 2.0, -v5
	s_waitcnt lgkmcnt(0)
	v_sub_f32_e32 v29, v11, v33
	v_and_or_b32 v33, v0, s0, v7
	v_fma_f32 v16, v16, 2.0, -v6
	v_lshlrev_b32_e32 v118, 3, v33
	s_movk_i32 s0, 0xf8
	s_waitcnt lgkmcnt(0)
	; wave barrier
	ds_write2_b64 v118, v[15:16], v[5:6] offset1:4
	v_and_or_b32 v5, v4, s0, v7
	s_movk_i32 s0, 0x1f8
	v_lshlrev_b32_e32 v119, 3, v5
	v_and_or_b32 v5, v3, s0, v7
	v_mul_f32_e32 v34, v27, v94
	v_lshlrev_b32_e32 v120, 3, v5
	v_and_or_b32 v5, v2, s0, v7
	s_movk_i32 s0, 0x3f8
	v_fmac_f32_e32 v34, v28, v93
	v_fmac_f32_e32 v36, v30, v93
	v_lshlrev_b32_e32 v121, 3, v5
	v_and_or_b32 v5, v147, s0, v7
	s_movk_i32 s0, 0x2f8
	v_sub_f32_e32 v27, v21, v31
	v_sub_f32_e32 v28, v22, v32
	;; [unrolled: 1-line block ×5, first 2 shown]
	v_lshlrev_b32_e32 v122, 3, v5
	v_and_or_b32 v5, v1, s0, v7
	v_and_b32_e32 v7, 7, v109
	v_fma_f32 v17, v17, 2.0, -v23
	v_fma_f32 v18, v18, 2.0, -v24
	;; [unrolled: 1-line block ×10, first 2 shown]
	v_lshlrev_b32_e32 v123, 3, v5
	v_lshlrev_b32_e32 v5, 3, v7
	ds_write2_b64 v119, v[17:18], v[23:24] offset1:4
	ds_write2_b64 v120, v[19:20], v[25:26] offset1:4
	;; [unrolled: 1-line block ×5, first 2 shown]
	s_waitcnt lgkmcnt(0)
	; wave barrier
	s_waitcnt lgkmcnt(0)
	global_load_dwordx2 v[95:96], v5, s[14:15] offset:48
	ds_read2_b64 v[11:14], v138 offset0:80 offset1:136
	ds_read2_b64 v[15:18], v138 offset0:192 offset1:248
	;; [unrolled: 1-line block ×3, first 2 shown]
	s_movk_i32 s0, 0x70
	v_and_or_b32 v33, v0, s0, v7
	v_lshlrev_b32_e32 v124, 3, v33
	s_movk_i32 s0, 0xf0
	v_and_b32_e32 v34, 15, v144
	v_and_b32_e32 v33, 15, v8
	;; [unrolled: 1-line block ×3, first 2 shown]
	s_waitcnt vmcnt(0) lgkmcnt(2)
	v_mul_f32_e32 v5, v12, v96
	v_fma_f32 v5, v11, v95, -v5
	v_mul_f32_e32 v6, v11, v96
	v_mul_f32_e32 v11, v14, v96
	v_fma_f32 v23, v13, v95, -v11
	s_waitcnt lgkmcnt(1)
	v_mul_f32_e32 v11, v16, v96
	v_fma_f32 v25, v15, v95, -v11
	v_mul_f32_e32 v11, v18, v96
	v_mul_f32_e32 v24, v13, v96
	v_fma_f32 v27, v17, v95, -v11
	s_waitcnt lgkmcnt(0)
	v_mul_f32_e32 v11, v20, v96
	v_fmac_f32_e32 v6, v12, v95
	v_fmac_f32_e32 v24, v14, v95
	v_fma_f32 v29, v19, v95, -v11
	ds_read2_b64 v[11:14], v107 offset1:56
	v_mul_f32_e32 v30, v19, v96
	v_mul_f32_e32 v26, v15, v96
	v_mul_f32_e32 v28, v17, v96
	v_fmac_f32_e32 v30, v20, v95
	v_mul_f32_e32 v15, v22, v96
	v_mul_f32_e32 v32, v21, v96
	s_waitcnt lgkmcnt(0)
	v_sub_f32_e32 v5, v11, v5
	v_sub_f32_e32 v6, v12, v6
	;; [unrolled: 1-line block ×4, first 2 shown]
	v_fmac_f32_e32 v26, v16, v95
	v_fmac_f32_e32 v28, v18, v95
	v_fma_f32 v31, v21, v95, -v15
	v_fmac_f32_e32 v32, v22, v95
	ds_read2_b64 v[15:18], v107 offset0:112 offset1:168
	v_fma_f32 v21, v11, 2.0, -v5
	v_fma_f32 v22, v12, 2.0, -v6
	v_fma_f32 v23, v13, 2.0, -v19
	v_fma_f32 v24, v14, 2.0, -v20
	ds_read2_b64 v[11:14], v139 offset0:96 offset1:152
	s_waitcnt lgkmcnt(0)
	; wave barrier
	s_waitcnt lgkmcnt(0)
	ds_write2_b64 v124, v[21:22], v[5:6] offset1:8
	v_and_or_b32 v5, v4, s0, v7
	s_movk_i32 s0, 0x1f0
	v_lshlrev_b32_e32 v125, 3, v5
	v_and_or_b32 v5, v3, s0, v7
	v_lshlrev_b32_e32 v126, 3, v5
	v_and_or_b32 v5, v2, s0, v7
	s_movk_i32 s0, 0x3f0
	v_lshlrev_b32_e32 v127, 3, v5
	v_and_or_b32 v5, v147, s0, v7
	s_movk_i32 s0, 0x2f0
	v_sub_f32_e32 v25, v15, v25
	v_sub_f32_e32 v26, v16, v26
	;; [unrolled: 1-line block ×8, first 2 shown]
	v_lshlrev_b32_e32 v128, 3, v5
	v_and_or_b32 v5, v1, s0, v7
	v_and_b32_e32 v7, 15, v109
	v_fma_f32 v15, v15, 2.0, -v25
	v_fma_f32 v16, v16, 2.0, -v26
	;; [unrolled: 1-line block ×8, first 2 shown]
	v_lshlrev_b32_e32 v129, 3, v5
	v_lshlrev_b32_e32 v5, 3, v7
	ds_write2_b64 v125, v[23:24], v[19:20] offset1:8
	ds_write2_b64 v126, v[15:16], v[25:26] offset1:8
	;; [unrolled: 1-line block ×5, first 2 shown]
	s_waitcnt lgkmcnt(0)
	; wave barrier
	s_waitcnt lgkmcnt(0)
	global_load_dwordx2 v[97:98], v5, s[14:15] offset:112
	v_lshlrev_b32_e32 v6, 3, v34
	v_lshlrev_b32_e32 v5, 3, v33
	global_load_dword v130, v6, s[14:15] offset:116
	global_load_dwordx2 v[99:100], v6, s[14:15] offset:112
	global_load_dword v131, v5, s[14:15] offset:112
	v_lshlrev_b32_e32 v5, 3, v35
	global_load_dwordx2 v[101:102], v5, s[14:15] offset:112
	ds_read2_b64 v[11:14], v138 offset0:80 offset1:136
	ds_read2_b64 v[15:18], v138 offset0:192 offset1:248
	s_movk_i32 s0, 0x60
	v_and_or_b32 v0, v0, s0, v7
	s_movk_i32 s0, 0xe0
	v_lshlrev_b32_e32 v132, 3, v0
	v_and_or_b32 v0, v4, s0, v33
	s_movk_i32 s0, 0x1e0
	v_lshlrev_b32_e32 v133, 3, v0
	v_and_or_b32 v0, v3, s0, v7
	v_lshlrev_b32_e32 v134, 3, v0
	v_and_or_b32 v0, v2, s0, v35
	s_movk_i32 s0, 0x3e0
	v_lshlrev_b32_e32 v135, 3, v0
	v_and_or_b32 v0, v147, s0, v7
	v_lshlrev_b32_e32 v136, 3, v0
	s_movk_i32 s0, 0x2e0
	v_and_or_b32 v0, v1, s0, v34
	v_lshlrev_b32_e32 v137, 3, v0
	v_cmp_gt_u16_e64 s[0:1], 40, v109
	s_waitcnt vmcnt(4) lgkmcnt(1)
	v_mul_f32_e32 v5, v12, v98
	v_fma_f32 v5, v11, v97, -v5
	v_mul_f32_e32 v6, v11, v98
	s_waitcnt vmcnt(2)
	v_mul_f32_e32 v11, v14, v100
	s_waitcnt vmcnt(1)
	v_fma_f32 v19, v13, v131, -v11
	v_mul_f32_e32 v20, v13, v100
	s_waitcnt lgkmcnt(0)
	v_mul_f32_e32 v11, v16, v98
	v_fmac_f32_e32 v6, v12, v97
	v_fmac_f32_e32 v20, v14, v131
	v_fma_f32 v25, v15, v97, -v11
	ds_read2_b64 v[11:14], v10 offset0:48 offset1:104
	v_mul_f32_e32 v26, v15, v98
	s_waitcnt vmcnt(0)
	v_mul_f32_e32 v15, v18, v102
	v_fma_f32 v27, v17, v101, -v15
	v_mul_f32_e32 v28, v17, v102
	s_waitcnt lgkmcnt(0)
	v_mul_f32_e32 v15, v12, v98
	v_fmac_f32_e32 v26, v16, v97
	v_fmac_f32_e32 v28, v18, v101
	v_fma_f32 v29, v11, v97, -v15
	ds_read2_b64 v[15:18], v107 offset1:56
	v_mul_f32_e32 v30, v11, v98
	v_mul_f32_e32 v11, v14, v130
	;; [unrolled: 1-line block ×3, first 2 shown]
	v_fmac_f32_e32 v30, v12, v97
	s_waitcnt lgkmcnt(0)
	v_sub_f32_e32 v5, v15, v5
	v_sub_f32_e32 v6, v16, v6
	;; [unrolled: 1-line block ×4, first 2 shown]
	v_fma_f32 v31, v13, v99, -v11
	v_fmac_f32_e32 v32, v14, v99
	ds_read2_b64 v[11:14], v107 offset0:112 offset1:168
	v_fma_f32 v21, v15, 2.0, -v5
	v_fma_f32 v22, v16, 2.0, -v6
	;; [unrolled: 1-line block ×4, first 2 shown]
	ds_read2_b64 v[15:18], v139 offset0:96 offset1:152
	s_waitcnt lgkmcnt(1)
	v_sub_f32_e32 v25, v11, v25
	v_sub_f32_e32 v26, v12, v26
	;; [unrolled: 1-line block ×4, first 2 shown]
	s_waitcnt lgkmcnt(0)
	v_sub_f32_e32 v29, v15, v29
	v_sub_f32_e32 v30, v16, v30
	v_fma_f32 v11, v11, 2.0, -v25
	v_fma_f32 v12, v12, 2.0, -v26
	;; [unrolled: 1-line block ×6, first 2 shown]
	v_sub_f32_e32 v31, v17, v31
	v_sub_f32_e32 v32, v18, v32
	s_waitcnt lgkmcnt(0)
	; wave barrier
	ds_write2_b64 v132, v[21:22], v[5:6] offset1:16
	ds_write2_b64 v133, v[23:24], v[19:20] offset1:16
	;; [unrolled: 1-line block ×5, first 2 shown]
	v_and_b32_e32 v28, 31, v109
	v_and_b32_e32 v30, 31, v145
	v_fma_f32 v17, v17, 2.0, -v31
	v_fma_f32 v18, v18, 2.0, -v32
	v_lshlrev_b32_e32 v0, 4, v28
	v_and_b32_e32 v29, 31, v8
	v_lshlrev_b32_e32 v11, 4, v30
	ds_write2_b64 v137, v[17:18], v[31:32] offset1:16
	s_waitcnt lgkmcnt(0)
	; wave barrier
	s_waitcnt lgkmcnt(0)
	global_load_dwordx4 v[4:7], v0, s[14:15] offset:240
	global_load_dwordx4 v[24:27], v11, s[14:15] offset:240
	v_lshlrev_b32_e32 v0, 4, v29
	global_load_dwordx4 v[0:3], v0, s[14:15] offset:240
	v_and_b32_e32 v31, 31, v146
	v_lshlrev_b32_e32 v11, 4, v31
	global_load_dwordx4 v[12:15], v11, s[14:15] offset:240
	ds_read2_b64 v[16:19], v139 offset0:96 offset1:152
	ds_read2_b64 v[20:23], v138 offset0:192 offset1:248
	;; [unrolled: 1-line block ×3, first 2 shown]
	s_waitcnt vmcnt(3) lgkmcnt(2)
	v_mul_f32_e32 v11, v17, v5
	v_fma_f32 v32, v16, v4, -v11
	v_mul_f32_e32 v33, v16, v5
	s_waitcnt vmcnt(1)
	v_mul_f32_e32 v11, v19, v1
	v_mul_f32_e32 v35, v18, v1
	v_fmac_f32_e32 v33, v17, v4
	v_fma_f32 v34, v18, v0, -v11
	v_fmac_f32_e32 v35, v19, v0
	ds_read2_b64 v[16:19], v138 offset0:80 offset1:136
	s_waitcnt lgkmcnt(2)
	v_mul_f32_e32 v11, v21, v7
	v_fma_f32 v36, v20, v6, -v11
	v_mul_f32_e32 v37, v20, v7
	v_mul_f32_e32 v11, v23, v3
	v_mul_f32_e32 v39, v22, v3
	v_fmac_f32_e32 v37, v21, v6
	v_fma_f32 v38, v22, v2, -v11
	v_fmac_f32_e32 v39, v23, v2
	ds_read2_b64 v[20:23], v10 offset0:48 offset1:104
	s_waitcnt lgkmcnt(1)
	v_mul_f32_e32 v11, v17, v25
	v_mul_f32_e32 v41, v16, v25
	s_waitcnt vmcnt(0)
	v_mul_f32_e32 v10, v19, v13
	v_mul_f32_e32 v47, v18, v13
	v_fma_f32 v40, v16, v24, -v11
	v_fmac_f32_e32 v41, v17, v24
	v_fma_f32 v46, v18, v12, -v10
	v_fmac_f32_e32 v47, v19, v12
	ds_read2_b64 v[16:19], v107 offset1:56
	s_waitcnt lgkmcnt(1)
	v_mul_f32_e32 v10, v21, v27
	v_fma_f32 v48, v20, v26, -v10
	v_mul_f32_e32 v49, v20, v27
	v_add_f32_e32 v20, v33, v37
	v_fmac_f32_e32 v49, v21, v26
	v_mul_f32_e32 v10, v23, v15
	s_waitcnt lgkmcnt(0)
	v_add_f32_e32 v11, v17, v33
	v_add_f32_e32 v21, v32, v36
	v_fma_f32 v17, -0.5, v20, v17
	v_lshrrev_b32_e32 v20, 5, v109
	v_fma_f32 v53, v22, v14, -v10
	v_mul_f32_e32 v22, v22, v15
	v_add_f32_e32 v10, v16, v32
	v_fma_f32 v16, -0.5, v21, v16
	v_mul_u32_u24_e32 v20, 0x60, v20
	v_fmac_f32_e32 v22, v23, v14
	v_sub_f32_e32 v23, v33, v37
	v_sub_f32_e32 v32, v32, v36
	v_or_b32_e32 v28, v20, v28
	v_mov_b32_e32 v20, v16
	v_mov_b32_e32 v21, v17
	v_add_f32_e32 v10, v10, v36
	v_add_f32_e32 v11, v11, v37
	v_fmac_f32_e32 v20, 0x3f5db3d7, v23
	v_fmac_f32_e32 v21, 0xbf5db3d7, v32
	v_lshlrev_b32_e32 v140, 3, v28
	v_fmac_f32_e32 v16, 0xbf5db3d7, v23
	v_fmac_f32_e32 v17, 0x3f5db3d7, v32
	s_waitcnt lgkmcnt(0)
	; wave barrier
	ds_write2_b64 v140, v[10:11], v[20:21] offset1:32
	ds_write_b64 v140, v[16:17] offset:512
	v_add_f32_e32 v11, v34, v38
	v_add_f32_e32 v16, v35, v39
	;; [unrolled: 1-line block ×3, first 2 shown]
	v_fma_f32 v18, -0.5, v11, v18
	v_add_f32_e32 v11, v19, v35
	v_fmac_f32_e32 v19, -0.5, v16
	v_lshrrev_b32_e32 v16, 5, v8
	v_mul_u32_u24_e32 v16, 0x60, v16
	v_sub_f32_e32 v20, v35, v39
	v_sub_f32_e32 v21, v34, v38
	v_or_b32_e32 v23, v16, v29
	v_mov_b32_e32 v16, v18
	v_mov_b32_e32 v17, v19
	v_lshlrev_b32_e32 v141, 3, v23
	v_fmac_f32_e32 v18, 0xbf5db3d7, v20
	v_fmac_f32_e32 v19, 0x3f5db3d7, v21
	v_add_f32_e32 v10, v10, v38
	v_add_f32_e32 v11, v11, v39
	v_fmac_f32_e32 v16, 0x3f5db3d7, v20
	v_fmac_f32_e32 v17, 0xbf5db3d7, v21
	ds_write_b64 v141, v[18:19] offset:512
	v_add_f32_e32 v18, v40, v48
	ds_write2_b64 v141, v[10:11], v[16:17] offset1:32
	v_add_f32_e32 v10, v42, v40
	v_add_f32_e32 v17, v41, v49
	v_fma_f32 v42, -0.5, v18, v42
	v_lshrrev_b32_e32 v18, 5, v145
	v_add_f32_e32 v11, v43, v41
	v_fma_f32 v43, -0.5, v17, v43
	v_mul_u32_u24_e32 v18, 0x60, v18
	v_sub_f32_e32 v16, v41, v49
	v_sub_f32_e32 v17, v40, v48
	v_or_b32_e32 v18, v18, v30
	v_mov_b32_e32 v40, v42
	v_mov_b32_e32 v41, v43
	v_add_f32_e32 v10, v10, v48
	v_add_f32_e32 v11, v11, v49
	v_fmac_f32_e32 v40, 0x3f5db3d7, v16
	v_fmac_f32_e32 v41, 0xbf5db3d7, v17
	v_lshlrev_b32_e32 v142, 3, v18
	ds_write2_b64 v142, v[10:11], v[40:41] offset1:32
	v_add_f32_e32 v11, v46, v53
	v_add_f32_e32 v10, v44, v46
	v_fma_f32 v44, -0.5, v11, v44
	v_add_f32_e32 v50, v10, v53
	v_mov_b32_e32 v52, v44
	v_sub_f32_e32 v10, v47, v22
	v_fmac_f32_e32 v52, 0x3f5db3d7, v10
	v_fmac_f32_e32 v44, 0xbf5db3d7, v10
	v_add_f32_e32 v10, v45, v47
	v_add_f32_e32 v51, v10, v22
	;; [unrolled: 1-line block ×3, first 2 shown]
	v_fmac_f32_e32 v45, -0.5, v10
	v_sub_f32_e32 v10, v46, v53
	v_mov_b32_e32 v53, v45
	v_fmac_f32_e32 v53, 0xbf5db3d7, v10
	v_fmac_f32_e32 v45, 0x3f5db3d7, v10
	v_lshrrev_b32_e32 v10, 5, v146
	v_mul_u32_u24_e32 v10, 0x60, v10
	v_or_b32_e32 v10, v10, v31
	v_fmac_f32_e32 v42, 0xbf5db3d7, v16
	v_fmac_f32_e32 v43, 0x3f5db3d7, v17
	v_lshlrev_b32_e32 v143, 3, v10
	ds_write_b64 v142, v[42:43] offset:512
	ds_write2_b64 v143, v[50:51], v[52:53] offset1:32
	ds_write_b64 v143, v[44:45] offset:512
	s_waitcnt lgkmcnt(0)
	; wave barrier
	s_waitcnt lgkmcnt(0)
	ds_read_b64 v[103:104], v107 offset:4608
	ds_read2_b64 v[46:49], v107 offset1:96
	ds_read2_b64 v[58:61], v139 offset0:64 offset1:160
	ds_read2_b64 v[54:57], v138 offset0:128 offset1:224
	s_and_saveexec_b64 s[4:5], s[0:1]
	s_cbranch_execz .LBB0_3
; %bb.2:
	ds_read2_b64 v[40:43], v107 offset0:56 offset1:152
	ds_read2_b64 v[62:65], v9 offset0:56 offset1:152
	;; [unrolled: 1-line block ×3, first 2 shown]
	ds_read_b64 v[105:106], v107 offset:5056
	s_waitcnt lgkmcnt(2)
	v_mov_b32_e32 v44, v62
	v_mov_b32_e32 v45, v63
.LBB0_3:
	s_or_b64 exec, exec, s[4:5]
	v_mad_u64_u32 v[9:10], s[4:5], v109, 48, s[14:15]
	v_subrev_u32_e32 v11, 40, v109
	v_cndmask_b32_e64 v8, v11, v8, s[0:1]
	v_mul_hi_i32_i24_e32 v11, 48, v8
	v_mul_i32_i24_e32 v8, 48, v8
	global_load_dwordx4 v[28:31], v[9:10], off offset:752
	global_load_dwordx4 v[36:39], v[9:10], off offset:768
	v_mov_b32_e32 v17, s15
	global_load_dwordx4 v[32:35], v[9:10], off offset:784
	v_add_co_u32_e32 v16, vcc, s14, v8
	v_addc_co_u32_e32 v17, vcc, v17, v11, vcc
	global_load_dwordx4 v[8:11], v[16:17], off offset:752
	global_load_dwordx4 v[20:23], v[16:17], off offset:768
	s_nop 0
	global_load_dwordx4 v[16:19], v[16:17], off offset:784
	v_lshlrev_b32_e32 v148, 4, v145
	v_lshlrev_b32_e32 v145, 4, v146
	;; [unrolled: 1-line block ×4, first 2 shown]
	s_mov_b32 s5, 0x3f3bfb3b
	s_mov_b32 s4, 0x3f5ff5aa
	s_waitcnt vmcnt(5) lgkmcnt(2)
	v_mul_f32_e32 v144, v49, v29
	v_mul_f32_e32 v146, v48, v29
	s_waitcnt lgkmcnt(1)
	v_mul_f32_e32 v147, v59, v31
	s_waitcnt vmcnt(4) lgkmcnt(0)
	v_mul_f32_e32 v153, v54, v39
	s_waitcnt vmcnt(3)
	v_mul_f32_e32 v154, v57, v33
	v_mul_f32_e32 v156, v104, v35
	v_mul_f32_e32 v149, v58, v31
	v_mul_f32_e32 v150, v61, v37
	v_mul_f32_e32 v152, v55, v39
	v_mul_f32_e32 v155, v56, v33
	v_mul_f32_e32 v157, v103, v35
	s_waitcnt vmcnt(2)
	v_mul_f32_e32 v159, v42, v9
	v_mul_f32_e32 v160, v51, v11
	s_waitcnt vmcnt(1)
	v_mul_f32_e32 v162, v53, v21
	v_fma_f32 v48, v48, v28, -v144
	v_fmac_f32_e32 v146, v49, v28
	v_fma_f32 v49, v58, v30, -v147
	v_fmac_f32_e32 v153, v55, v38
	v_fma_f32 v55, v56, v32, -v154
	v_fma_f32 v56, v103, v34, -v156
	v_mul_f32_e32 v151, v60, v37
	v_mul_f32_e32 v158, v43, v9
	;; [unrolled: 1-line block ×5, first 2 shown]
	s_waitcnt vmcnt(0)
	v_mul_f32_e32 v166, v65, v17
	v_fmac_f32_e32 v149, v59, v30
	v_fma_f32 v58, v60, v36, -v150
	v_fma_f32 v54, v54, v38, -v152
	v_fmac_f32_e32 v155, v57, v32
	v_fmac_f32_e32 v157, v104, v34
	;; [unrolled: 1-line block ×3, first 2 shown]
	v_fma_f32 v43, v50, v10, -v160
	v_fma_f32 v50, v52, v20, -v162
	v_add_f32_e32 v52, v48, v56
	v_add_f32_e32 v57, v49, v55
	v_mul_f32_e32 v164, v45, v23
	v_mul_f32_e32 v167, v64, v17
	;; [unrolled: 1-line block ×3, first 2 shown]
	v_fmac_f32_e32 v151, v61, v36
	v_fmac_f32_e32 v163, v53, v20
	v_fmac_f32_e32 v165, v45, v22
	v_fma_f32 v45, v64, v16, -v166
	v_add_f32_e32 v53, v146, v157
	v_add_f32_e32 v59, v149, v155
	v_sub_f32_e32 v49, v49, v55
	v_add_f32_e32 v60, v58, v54
	v_sub_f32_e32 v54, v54, v58
	v_add_f32_e32 v64, v57, v52
	v_mul_f32_e32 v169, v105, v19
	v_fmac_f32_e32 v161, v51, v10
	v_fmac_f32_e32 v167, v65, v16
	v_fma_f32 v51, v105, v18, -v168
	v_sub_f32_e32 v48, v48, v56
	v_sub_f32_e32 v55, v149, v155
	v_add_f32_e32 v61, v151, v153
	v_sub_f32_e32 v58, v153, v151
	v_add_f32_e32 v65, v59, v53
	v_sub_f32_e32 v103, v57, v52
	v_sub_f32_e32 v52, v52, v60
	;; [unrolled: 1-line block ×3, first 2 shown]
	v_add_f32_e32 v105, v54, v49
	v_add_f32_e32 v60, v60, v64
	v_fmac_f32_e32 v169, v106, v18
	v_sub_f32_e32 v56, v146, v157
	v_sub_f32_e32 v104, v59, v53
	;; [unrolled: 1-line block ×4, first 2 shown]
	v_add_f32_e32 v106, v58, v55
	v_sub_f32_e32 v144, v54, v49
	v_sub_f32_e32 v54, v48, v54
	;; [unrolled: 1-line block ×3, first 2 shown]
	v_add_f32_e32 v61, v61, v65
	v_add_f32_e32 v48, v105, v48
	;; [unrolled: 1-line block ×3, first 2 shown]
	v_sub_f32_e32 v146, v58, v55
	v_sub_f32_e32 v58, v56, v58
	;; [unrolled: 1-line block ×3, first 2 shown]
	v_add_f32_e32 v56, v106, v56
	v_add_f32_e32 v106, v47, v61
	v_mul_f32_e32 v46, 0x3f4a47b2, v52
	v_mul_f32_e32 v47, 0x3f4a47b2, v53
	;; [unrolled: 1-line block ×4, first 2 shown]
	v_mov_b32_e32 v147, v105
	v_mul_f32_e32 v64, 0xbf08b237, v144
	v_mul_f32_e32 v65, 0xbf08b237, v146
	v_fmac_f32_e32 v147, 0xbf955555, v60
	v_mov_b32_e32 v60, v106
	v_fma_f32 v52, v103, s5, -v52
	v_fma_f32 v53, v104, s5, -v53
	s_mov_b32 s5, 0xbf3bfb3b
	v_mul_f32_e32 v144, 0x3f5ff5aa, v49
	v_mul_f32_e32 v146, 0x3f5ff5aa, v55
	v_fmac_f32_e32 v60, 0xbf955555, v61
	v_fma_f32 v61, v103, s5, -v46
	v_fmac_f32_e32 v46, 0x3d64c772, v57
	v_fma_f32 v57, v104, s5, -v47
	;; [unrolled: 2-line block ×4, first 2 shown]
	v_fmac_f32_e32 v65, 0x3eae86e6, v58
	s_mov_b32 s4, 0xbeae86e6
	v_fma_f32 v42, v42, v8, -v158
	v_fma_f32 v54, v54, s4, -v144
	v_add_f32_e32 v46, v46, v147
	v_add_f32_e32 v47, v47, v60
	v_fmac_f32_e32 v64, 0x3ee1c552, v48
	v_fmac_f32_e32 v65, 0x3ee1c552, v56
	v_fma_f32 v58, v58, s4, -v146
	v_add_f32_e32 v52, v52, v147
	v_add_f32_e32 v53, v53, v60
	;; [unrolled: 1-line block ×4, first 2 shown]
	v_fmac_f32_e32 v49, 0x3ee1c552, v48
	v_fmac_f32_e32 v54, 0x3ee1c552, v48
	v_add_f32_e32 v146, v65, v46
	v_sub_f32_e32 v147, v47, v64
	v_sub_f32_e32 v157, v46, v65
	v_add_f32_e32 v158, v64, v47
	v_add_f32_e32 v46, v42, v51
	;; [unrolled: 1-line block ×3, first 2 shown]
	v_sub_f32_e32 v42, v42, v51
	v_add_f32_e32 v51, v161, v167
	v_fma_f32 v44, v44, v22, -v164
	v_fmac_f32_e32 v55, 0x3ee1c552, v56
	v_sub_f32_e32 v150, v57, v54
	v_add_f32_e32 v152, v49, v53
	v_sub_f32_e32 v154, v53, v49
	v_add_f32_e32 v156, v54, v57
	v_add_f32_e32 v49, v43, v45
	;; [unrolled: 1-line block ×4, first 2 shown]
	v_fmac_f32_e32 v58, 0x3ee1c552, v56
	v_sub_f32_e32 v151, v52, v55
	v_add_f32_e32 v153, v55, v52
	v_sub_f32_e32 v43, v43, v45
	v_sub_f32_e32 v52, v161, v167
	v_add_f32_e32 v53, v50, v44
	v_sub_f32_e32 v50, v44, v50
	v_sub_f32_e32 v55, v165, v163
	v_add_f32_e32 v56, v49, v46
	v_add_f32_e32 v57, v54, v57
	;; [unrolled: 1-line block ×3, first 2 shown]
	v_sub_f32_e32 v155, v59, v58
	v_sub_f32_e32 v48, v159, v169
	;; [unrolled: 1-line block ×8, first 2 shown]
	v_add_f32_e32 v51, v55, v52
	v_sub_f32_e32 v60, v50, v43
	v_sub_f32_e32 v61, v55, v52
	v_add_f32_e32 v53, v53, v56
	v_add_f32_e32 v41, v41, v57
	;; [unrolled: 1-line block ×3, first 2 shown]
	v_sub_f32_e32 v65, v48, v55
	v_sub_f32_e32 v43, v43, v42
	;; [unrolled: 1-line block ×3, first 2 shown]
	v_add_f32_e32 v51, v51, v48
	v_add_f32_e32 v40, v40, v53
	v_mul_f32_e32 v103, 0x3f4a47b2, v59
	v_mul_f32_e32 v54, 0xbf08b237, v60
	;; [unrolled: 1-line block ×3, first 2 shown]
	v_mov_b32_e32 v59, v41
	v_sub_f32_e32 v64, v42, v50
	v_add_f32_e32 v50, v49, v42
	v_mul_f32_e32 v42, 0x3f4a47b2, v58
	v_mul_f32_e32 v56, 0x3f5ff5aa, v43
	;; [unrolled: 1-line block ×3, first 2 shown]
	v_mov_b32_e32 v49, v40
	v_fmac_f32_e32 v59, 0xbf955555, v57
	v_mov_b32_e32 v57, v54
	v_mov_b32_e32 v58, v48
	v_fmac_f32_e32 v49, 0xbf955555, v53
	v_fma_f32 v43, v44, s5, -v42
	v_fmac_f32_e32 v42, 0x3d64c772, v46
	v_fma_f32 v52, v45, s5, -v103
	v_fmac_f32_e32 v103, 0x3d64c772, v47
	v_fmac_f32_e32 v57, 0x3eae86e6, v64
	;; [unrolled: 1-line block ×3, first 2 shown]
	v_fma_f32 v61, v64, s4, -v56
	v_fma_f32 v64, v65, s4, -v55
	v_add_f32_e32 v60, v42, v49
	v_add_f32_e32 v65, v103, v59
	;; [unrolled: 1-line block ×4, first 2 shown]
	v_fmac_f32_e32 v57, 0x3ee1c552, v50
	v_fmac_f32_e32 v58, 0x3ee1c552, v51
	;; [unrolled: 1-line block ×4, first 2 shown]
	v_sub_f32_e32 v42, v103, v64
	v_add_f32_e32 v43, v61, v104
	v_sub_f32_e32 v52, v60, v58
	v_add_f32_e32 v53, v57, v65
	ds_write2_b64 v107, v[105:106], v[146:147] offset1:96
	ds_write2_b64 v139, v[149:150], v[151:152] offset0:64 offset1:160
	ds_write2_b64 v138, v[153:154], v[155:156] offset0:128 offset1:224
	ds_write_b64 v107, v[157:158] offset:4608
	s_and_saveexec_b64 s[4:5], s[0:1]
	s_cbranch_execz .LBB0_5
; %bb.4:
	v_mul_f32_e32 v47, 0x3d64c772, v47
	v_mul_f32_e32 v45, 0x3f3bfb3b, v45
	v_sub_f32_e32 v45, v45, v47
	v_mul_f32_e32 v46, 0x3d64c772, v46
	v_mul_f32_e32 v44, 0x3f3bfb3b, v44
	;; [unrolled: 1-line block ×3, first 2 shown]
	v_add_f32_e32 v47, v45, v59
	v_sub_f32_e32 v45, v56, v54
	v_mul_f32_e32 v51, 0x3ee1c552, v51
	v_add_f32_e32 v50, v50, v45
	v_sub_f32_e32 v48, v55, v48
	v_sub_f32_e32 v44, v44, v46
	;; [unrolled: 1-line block ×3, first 2 shown]
	v_add_f32_e32 v48, v51, v48
	v_add_f32_e32 v46, v44, v49
	;; [unrolled: 1-line block ×3, first 2 shown]
	v_sub_f32_e32 v51, v65, v57
	v_add_f32_e32 v50, v58, v60
	v_add_f32_e32 v44, v48, v46
	v_sub_f32_e32 v46, v46, v48
	v_sub_f32_e32 v49, v104, v61
	v_add_f32_e32 v48, v64, v103
	ds_write2_b64 v107, v[40:41], v[50:51] offset0:56 offset1:152
	v_add_u32_e32 v40, 0x400, v107
	ds_write2_b64 v40, v[48:49], v[46:47] offset0:120 offset1:216
	v_add_u32_e32 v40, 0xc00, v107
	ds_write2_b64 v40, v[44:45], v[42:43] offset0:56 offset1:152
	ds_write_b64 v107, v[52:53] offset:5056
.LBB0_5:
	s_or_b64 exec, exec, s[4:5]
	v_lshlrev_b32_e32 v40, 3, v109
	v_mov_b32_e32 v41, s13
	v_add_co_u32_e32 v46, vcc, s12, v40
	v_addc_co_u32_e32 v47, vcc, 0, v41, vcc
	v_add_co_u32_e32 v40, vcc, 0x1500, v46
	v_addc_co_u32_e32 v41, vcc, 0, v47, vcc
	s_waitcnt lgkmcnt(0)
	; wave barrier
	s_waitcnt lgkmcnt(0)
	global_load_dwordx2 v[48:49], v[40:41], off offset:448
	v_add_co_u32_e32 v44, vcc, 0x1000, v46
	v_addc_co_u32_e32 v45, vcc, 0, v47, vcc
	global_load_dwordx2 v[50:51], v[44:45], off offset:1280
	global_load_dwordx2 v[60:61], v[40:41], off offset:2688
	;; [unrolled: 1-line block ×6, first 2 shown]
	s_movk_i32 s4, 0x2000
	v_add_co_u32_e32 v44, vcc, s4, v46
	v_addc_co_u32_e32 v45, vcc, 0, v47, vcc
	global_load_dwordx2 v[155:156], v[44:45], off offset:1664
	global_load_dwordx2 v[157:158], v[44:45], off offset:2112
	;; [unrolled: 1-line block ×5, first 2 shown]
	ds_read2_b64 v[44:47], v107 offset1:56
	v_add_u32_e32 v54, 0x800, v107
	v_add_u32_e32 v55, 0x400, v107
	;; [unrolled: 1-line block ×4, first 2 shown]
	s_waitcnt vmcnt(10) lgkmcnt(0)
	v_mul_f32_e32 v57, v45, v51
	v_mul_f32_e32 v56, v47, v49
	;; [unrolled: 1-line block ×4, first 2 shown]
	v_fma_f32 v165, v46, v48, -v56
	v_fmac_f32_e32 v166, v47, v48
	v_fma_f32 v48, v44, v50, -v57
	v_fmac_f32_e32 v49, v45, v50
	ds_write_b64 v107, v[48:49]
	ds_read2_b64 v[44:47], v54 offset0:80 offset1:136
	ds_read2_b64 v[48:51], v107 offset0:112 offset1:168
	;; [unrolled: 1-line block ×5, first 2 shown]
	s_waitcnt vmcnt(9) lgkmcnt(4)
	v_mul_f32_e32 v168, v44, v61
	v_mul_f32_e32 v144, v45, v61
	s_waitcnt vmcnt(8)
	v_mul_f32_e32 v169, v47, v65
	v_mul_f32_e32 v61, v46, v65
	s_waitcnt vmcnt(6) lgkmcnt(3)
	v_mul_f32_e32 v170, v49, v147
	v_mul_f32_e32 v65, v48, v147
	s_waitcnt lgkmcnt(2)
	v_mul_f32_e32 v171, v57, v139
	v_mul_f32_e32 v147, v56, v139
	s_waitcnt vmcnt(5)
	v_mul_f32_e32 v172, v51, v154
	v_mul_f32_e32 v139, v50, v154
	s_waitcnt vmcnt(2)
	v_mul_f32_e32 v173, v59, v160
	v_mul_f32_e32 v154, v58, v160
	s_waitcnt vmcnt(1) lgkmcnt(1)
	v_mul_f32_e32 v174, v104, v162
	v_mul_f32_e32 v160, v103, v162
	s_waitcnt lgkmcnt(0)
	v_mul_f32_e32 v175, v150, v156
	v_mul_f32_e32 v162, v149, v156
	s_waitcnt vmcnt(0)
	v_mul_f32_e32 v176, v106, v164
	v_mul_f32_e32 v156, v105, v164
	;; [unrolled: 1-line block ×3, first 2 shown]
	v_fmac_f32_e32 v168, v45, v60
	v_mul_f32_e32 v45, v151, v158
	v_fma_f32 v167, v44, v60, -v144
	v_fma_f32 v60, v46, v64, -v169
	v_fmac_f32_e32 v61, v47, v64
	v_fma_f32 v64, v48, v146, -v170
	v_fmac_f32_e32 v65, v49, v146
	;; [unrolled: 2-line block ×9, first 2 shown]
	ds_write2_b64 v107, v[165:166], v[64:65] offset0:56 offset1:112
	ds_write2_b64 v54, v[60:61], v[146:147] offset0:136 offset1:192
	;; [unrolled: 1-line block ×5, first 2 shown]
	ds_write_b64 v107, v[44:45] offset:4928
	s_waitcnt lgkmcnt(0)
	; wave barrier
	s_waitcnt lgkmcnt(0)
	ds_read2_b64 v[44:47], v107 offset1:56
	ds_read2_b64 v[48:51], v54 offset0:80 offset1:136
	ds_read2_b64 v[56:59], v107 offset0:112 offset1:168
	;; [unrolled: 1-line block ×5, first 2 shown]
	s_waitcnt lgkmcnt(4)
	v_sub_f32_e32 v159, v44, v48
	v_sub_f32_e32 v160, v45, v49
	;; [unrolled: 1-line block ×4, first 2 shown]
	s_waitcnt lgkmcnt(2)
	v_sub_f32_e32 v60, v58, v105
	v_sub_f32_e32 v61, v59, v106
	s_waitcnt lgkmcnt(0)
	v_sub_f32_e32 v105, v149, v153
	v_sub_f32_e32 v106, v150, v154
	v_fma_f32 v157, v44, 2.0, -v159
	v_fma_f32 v158, v45, 2.0, -v160
	v_fma_f32 v46, v46, 2.0, -v48
	v_fma_f32 v47, v47, 2.0, -v49
	v_sub_f32_e32 v163, v56, v103
	v_sub_f32_e32 v164, v57, v104
	v_fma_f32 v58, v58, 2.0, -v60
	v_fma_f32 v59, v59, 2.0, -v61
	v_fma_f32 v103, v149, 2.0, -v105
	v_fma_f32 v104, v150, 2.0, -v106
	;; [unrolled: 6-line block ×3, first 2 shown]
	s_waitcnt lgkmcnt(0)
	; wave barrier
	ds_write_b128 v110, v[157:160]
	ds_write_b128 v111, v[46:49]
	;; [unrolled: 1-line block ×6, first 2 shown]
	s_waitcnt lgkmcnt(0)
	; wave barrier
	s_waitcnt lgkmcnt(0)
	ds_read2_b64 v[44:47], v107 offset1:56
	ds_read2_b64 v[48:51], v54 offset0:80 offset1:136
	ds_read2_b64 v[56:59], v107 offset0:112 offset1:168
	;; [unrolled: 1-line block ×5, first 2 shown]
	s_waitcnt lgkmcnt(4)
	v_mul_f32_e32 v64, v92, v49
	v_fmac_f32_e32 v64, v91, v48
	v_mul_f32_e32 v48, v92, v48
	v_fma_f32 v49, v91, v49, -v48
	v_mul_f32_e32 v48, v92, v50
	v_mul_f32_e32 v65, v92, v51
	v_fma_f32 v51, v91, v51, -v48
	s_waitcnt lgkmcnt(2)
	v_mul_f32_e32 v48, v92, v60
	v_mul_f32_e32 v110, v92, v61
	v_fma_f32 v61, v91, v61, -v48
	v_mul_f32_e32 v48, v92, v62
	v_mul_f32_e32 v111, v92, v63
	v_fma_f32 v63, v91, v63, -v48
	s_waitcnt lgkmcnt(0)
	v_mul_f32_e32 v138, v92, v145
	v_mul_f32_e32 v48, v92, v144
	v_fmac_f32_e32 v65, v91, v50
	v_fmac_f32_e32 v138, v91, v144
	v_fma_f32 v139, v91, v145, -v48
	v_mul_f32_e32 v144, v92, v147
	v_mul_f32_e32 v48, v92, v146
	v_fmac_f32_e32 v110, v91, v60
	v_fmac_f32_e32 v111, v91, v62
	v_fmac_f32_e32 v144, v91, v146
	v_fma_f32 v145, v91, v147, -v48
	v_sub_f32_e32 v48, v44, v64
	v_sub_f32_e32 v50, v46, v65
	;; [unrolled: 1-line block ×10, first 2 shown]
	v_fma_f32 v91, v103, 2.0, -v64
	v_fma_f32 v92, v104, 2.0, -v65
	v_sub_f32_e32 v103, v105, v144
	v_sub_f32_e32 v104, v106, v145
	v_fma_f32 v44, v44, 2.0, -v48
	v_fma_f32 v45, v45, 2.0, -v49
	;; [unrolled: 1-line block ×10, first 2 shown]
	s_waitcnt lgkmcnt(0)
	; wave barrier
	ds_write2_b64 v112, v[44:45], v[48:49] offset1:2
	ds_write2_b64 v113, v[46:47], v[50:51] offset1:2
	;; [unrolled: 1-line block ×6, first 2 shown]
	s_waitcnt lgkmcnt(0)
	; wave barrier
	s_waitcnt lgkmcnt(0)
	ds_read2_b64 v[44:47], v107 offset1:56
	ds_read2_b64 v[48:51], v54 offset0:80 offset1:136
	ds_read2_b64 v[56:59], v107 offset0:112 offset1:168
	;; [unrolled: 1-line block ×5, first 2 shown]
	s_waitcnt lgkmcnt(4)
	v_mul_f32_e32 v64, v94, v49
	v_fmac_f32_e32 v64, v93, v48
	v_mul_f32_e32 v48, v94, v48
	v_fma_f32 v49, v93, v49, -v48
	v_mul_f32_e32 v48, v94, v50
	v_mul_f32_e32 v65, v94, v51
	v_fma_f32 v51, v93, v51, -v48
	s_waitcnt lgkmcnt(2)
	v_mul_f32_e32 v48, v94, v60
	v_mul_f32_e32 v91, v94, v61
	v_fma_f32 v61, v93, v61, -v48
	v_mul_f32_e32 v48, v94, v62
	v_mul_f32_e32 v92, v94, v63
	v_fma_f32 v63, v93, v63, -v48
	s_waitcnt lgkmcnt(0)
	v_mul_f32_e32 v114, v94, v111
	v_mul_f32_e32 v48, v94, v110
	v_fmac_f32_e32 v114, v93, v110
	v_fma_f32 v110, v93, v111, -v48
	v_mul_f32_e32 v111, v94, v113
	v_mul_f32_e32 v48, v94, v112
	v_fmac_f32_e32 v65, v93, v50
	v_fmac_f32_e32 v91, v93, v60
	;; [unrolled: 1-line block ×4, first 2 shown]
	v_fma_f32 v94, v93, v113, -v48
	v_sub_f32_e32 v48, v44, v64
	v_sub_f32_e32 v49, v45, v49
	;; [unrolled: 1-line block ×12, first 2 shown]
	v_fma_f32 v44, v44, 2.0, -v48
	v_fma_f32 v45, v45, 2.0, -v49
	;; [unrolled: 1-line block ×12, first 2 shown]
	s_waitcnt lgkmcnt(0)
	; wave barrier
	ds_write2_b64 v118, v[44:45], v[48:49] offset1:4
	ds_write2_b64 v119, v[46:47], v[50:51] offset1:4
	;; [unrolled: 1-line block ×6, first 2 shown]
	s_waitcnt lgkmcnt(0)
	; wave barrier
	s_waitcnt lgkmcnt(0)
	ds_read2_b64 v[44:47], v107 offset1:56
	ds_read2_b64 v[48:51], v54 offset0:80 offset1:136
	ds_read2_b64 v[56:59], v107 offset0:112 offset1:168
	;; [unrolled: 1-line block ×5, first 2 shown]
	s_waitcnt lgkmcnt(4)
	v_mul_f32_e32 v64, v96, v49
	v_fmac_f32_e32 v64, v95, v48
	v_mul_f32_e32 v48, v96, v48
	v_fma_f32 v49, v95, v49, -v48
	v_mul_f32_e32 v48, v96, v50
	v_mul_f32_e32 v65, v96, v51
	v_fma_f32 v51, v95, v51, -v48
	s_waitcnt lgkmcnt(2)
	v_mul_f32_e32 v48, v96, v60
	v_mul_f32_e32 v110, v96, v61
	v_fma_f32 v61, v95, v61, -v48
	v_mul_f32_e32 v48, v96, v62
	v_mul_f32_e32 v111, v96, v63
	v_fma_f32 v63, v95, v63, -v48
	s_waitcnt lgkmcnt(0)
	v_mul_f32_e32 v112, v96, v104
	v_mul_f32_e32 v48, v96, v103
	v_fmac_f32_e32 v112, v95, v103
	v_fma_f32 v103, v95, v104, -v48
	v_mul_f32_e32 v104, v96, v106
	v_mul_f32_e32 v48, v96, v105
	v_fmac_f32_e32 v65, v95, v50
	v_fmac_f32_e32 v110, v95, v60
	;; [unrolled: 1-line block ×4, first 2 shown]
	v_fma_f32 v96, v95, v106, -v48
	v_sub_f32_e32 v48, v44, v64
	v_sub_f32_e32 v49, v45, v49
	;; [unrolled: 1-line block ×12, first 2 shown]
	v_fma_f32 v44, v44, 2.0, -v48
	v_fma_f32 v45, v45, 2.0, -v49
	;; [unrolled: 1-line block ×12, first 2 shown]
	s_waitcnt lgkmcnt(0)
	; wave barrier
	ds_write2_b64 v124, v[44:45], v[48:49] offset1:8
	ds_write2_b64 v125, v[46:47], v[50:51] offset1:8
	;; [unrolled: 1-line block ×6, first 2 shown]
	s_waitcnt lgkmcnt(0)
	; wave barrier
	s_waitcnt lgkmcnt(0)
	ds_read2_b64 v[44:47], v107 offset1:56
	ds_read2_b64 v[48:51], v54 offset0:80 offset1:136
	ds_read2_b64 v[56:59], v107 offset0:112 offset1:168
	;; [unrolled: 1-line block ×5, first 2 shown]
	s_waitcnt lgkmcnt(4)
	v_mul_f32_e32 v64, v98, v49
	v_fmac_f32_e32 v64, v97, v48
	v_mul_f32_e32 v48, v98, v48
	v_fma_f32 v49, v97, v49, -v48
	v_mul_f32_e32 v48, v100, v50
	v_mul_f32_e32 v65, v100, v51
	v_fma_f32 v51, v131, v51, -v48
	s_waitcnt lgkmcnt(2)
	v_mul_f32_e32 v48, v98, v60
	v_mul_f32_e32 v95, v98, v61
	v_fma_f32 v61, v97, v61, -v48
	v_mul_f32_e32 v48, v102, v62
	v_mul_f32_e32 v96, v102, v63
	v_fma_f32 v63, v101, v63, -v48
	s_waitcnt lgkmcnt(0)
	v_mul_f32_e32 v100, v98, v104
	v_mul_f32_e32 v48, v98, v103
	v_fmac_f32_e32 v95, v97, v60
	v_fmac_f32_e32 v100, v97, v103
	v_fma_f32 v97, v97, v104, -v48
	v_mul_f32_e32 v98, v130, v106
	v_mul_f32_e32 v48, v130, v105
	v_fmac_f32_e32 v65, v131, v50
	v_fmac_f32_e32 v96, v101, v62
	;; [unrolled: 1-line block ×3, first 2 shown]
	v_fma_f32 v99, v99, v106, -v48
	v_sub_f32_e32 v48, v44, v64
	v_sub_f32_e32 v49, v45, v49
	;; [unrolled: 1-line block ×12, first 2 shown]
	v_fma_f32 v44, v44, 2.0, -v48
	v_fma_f32 v45, v45, 2.0, -v49
	;; [unrolled: 1-line block ×12, first 2 shown]
	s_waitcnt lgkmcnt(0)
	; wave barrier
	ds_write2_b64 v132, v[44:45], v[48:49] offset1:16
	ds_write2_b64 v133, v[46:47], v[50:51] offset1:16
	;; [unrolled: 1-line block ×6, first 2 shown]
	s_waitcnt lgkmcnt(0)
	; wave barrier
	s_waitcnt lgkmcnt(0)
	ds_read2_b64 v[48:51], v107 offset1:56
	ds_read2_b64 v[56:59], v55 offset0:96 offset1:152
	ds_read2_b64 v[60:63], v54 offset0:192 offset1:248
	;; [unrolled: 1-line block ×5, first 2 shown]
	s_waitcnt lgkmcnt(4)
	v_mul_f32_e32 v41, v5, v57
	v_mul_f32_e32 v5, v5, v56
	v_fmac_f32_e32 v41, v4, v56
	v_fma_f32 v4, v4, v57, -v5
	s_waitcnt lgkmcnt(3)
	v_mul_f32_e32 v5, v7, v61
	v_mul_f32_e32 v7, v7, v60
	v_fmac_f32_e32 v5, v6, v60
	v_fma_f32 v6, v6, v61, -v7
	v_mul_f32_e32 v7, v1, v59
	v_mul_f32_e32 v1, v1, v58
	v_fmac_f32_e32 v7, v0, v58
	v_fma_f32 v0, v0, v59, -v1
	v_mul_f32_e32 v1, v3, v63
	v_mul_f32_e32 v3, v3, v62
	s_waitcnt lgkmcnt(1)
	v_mul_f32_e32 v61, v13, v94
	v_mul_f32_e32 v13, v13, v93
	v_fmac_f32_e32 v1, v2, v62
	v_fma_f32 v2, v2, v63, -v3
	v_mul_f32_e32 v58, v25, v92
	v_mul_f32_e32 v3, v25, v91
	v_fmac_f32_e32 v61, v12, v93
	v_fma_f32 v62, v12, v94, -v13
	s_waitcnt lgkmcnt(0)
	v_mul_f32_e32 v63, v15, v98
	v_mul_f32_e32 v12, v15, v97
	v_add_f32_e32 v13, v41, v5
	v_fmac_f32_e32 v58, v24, v91
	v_fma_f32 v3, v24, v92, -v3
	v_mul_f32_e32 v24, v27, v95
	v_fmac_f32_e32 v63, v14, v97
	v_fma_f32 v64, v14, v98, -v12
	v_fma_f32 v14, -0.5, v13, v48
	v_fma_f32 v60, v26, v96, -v24
	v_sub_f32_e32 v13, v4, v6
	v_mov_b32_e32 v24, v14
	v_fmac_f32_e32 v24, 0xbf5db3d7, v13
	v_fmac_f32_e32 v14, 0x3f5db3d7, v13
	v_add_f32_e32 v13, v49, v4
	v_add_f32_e32 v4, v4, v6
	v_fma_f32 v15, -0.5, v4, v49
	v_sub_f32_e32 v4, v41, v5
	v_mov_b32_e32 v25, v15
	v_mul_f32_e32 v59, v27, v96
	v_fmac_f32_e32 v25, 0x3f5db3d7, v4
	v_fmac_f32_e32 v15, 0xbf5db3d7, v4
	v_add_f32_e32 v4, v50, v7
	v_fmac_f32_e32 v59, v26, v95
	v_add_f32_e32 v26, v4, v1
	v_add_f32_e32 v4, v7, v1
	v_fma_f32 v50, -0.5, v4, v50
	v_add_f32_e32 v12, v48, v41
	v_sub_f32_e32 v4, v0, v2
	v_mov_b32_e32 v48, v50
	v_fmac_f32_e32 v48, 0xbf5db3d7, v4
	v_fmac_f32_e32 v50, 0x3f5db3d7, v4
	v_add_f32_e32 v4, v51, v0
	v_add_f32_e32 v0, v0, v2
	v_fmac_f32_e32 v51, -0.5, v0
	v_sub_f32_e32 v0, v7, v1
	v_mov_b32_e32 v49, v51
	v_fmac_f32_e32 v49, 0x3f5db3d7, v0
	v_fmac_f32_e32 v51, 0xbf5db3d7, v0
	v_add_f32_e32 v0, v44, v58
	v_add_f32_e32 v56, v0, v59
	;; [unrolled: 1-line block ×4, first 2 shown]
	v_fma_f32 v2, -0.5, v0, v44
	v_sub_f32_e32 v1, v3, v60
	v_mov_b32_e32 v0, v2
	v_fmac_f32_e32 v0, 0xbf5db3d7, v1
	v_fmac_f32_e32 v2, 0x3f5db3d7, v1
	v_add_f32_e32 v1, v45, v3
	v_add_f32_e32 v57, v1, v60
	;; [unrolled: 1-line block ×3, first 2 shown]
	v_fma_f32 v3, -0.5, v1, v45
	v_add_f32_e32 v12, v12, v5
	v_sub_f32_e32 v4, v58, v59
	v_mov_b32_e32 v1, v3
	v_add_f32_e32 v5, v61, v63
	v_fmac_f32_e32 v1, 0x3f5db3d7, v4
	v_fmac_f32_e32 v3, 0xbf5db3d7, v4
	v_add_f32_e32 v4, v46, v61
	v_fma_f32 v46, -0.5, v5, v46
	v_add_f32_e32 v13, v13, v6
	v_sub_f32_e32 v5, v62, v64
	v_mov_b32_e32 v6, v46
	v_add_f32_e32 v7, v62, v64
	v_fmac_f32_e32 v6, 0xbf5db3d7, v5
	v_fmac_f32_e32 v46, 0x3f5db3d7, v5
	v_add_f32_e32 v5, v47, v62
	v_fmac_f32_e32 v47, -0.5, v7
	v_sub_f32_e32 v41, v61, v63
	v_mov_b32_e32 v7, v47
	v_add_f32_e32 v4, v4, v63
	v_add_f32_e32 v5, v5, v64
	v_fmac_f32_e32 v7, 0x3f5db3d7, v41
	v_fmac_f32_e32 v47, 0xbf5db3d7, v41
	s_waitcnt lgkmcnt(0)
	; wave barrier
	ds_write2_b64 v140, v[12:13], v[24:25] offset1:32
	ds_write_b64 v140, v[14:15] offset:512
	ds_write2_b64 v141, v[26:27], v[48:49] offset1:32
	ds_write_b64 v141, v[50:51] offset:512
	;; [unrolled: 2-line block ×4, first 2 shown]
	s_waitcnt lgkmcnt(0)
	; wave barrier
	s_waitcnt lgkmcnt(0)
	ds_read2_b64 v[12:15], v107 offset1:96
	ds_read2_b64 v[48:51], v55 offset0:64 offset1:160
	ds_read2_b64 v[24:27], v54 offset0:128 offset1:224
	ds_read_b64 v[44:45], v107 offset:4608
	s_and_saveexec_b64 s[4:5], s[0:1]
	s_cbranch_execz .LBB0_7
; %bb.6:
	ds_read2_b64 v[0:3], v107 offset0:56 offset1:152
	ds_read2_b64 v[40:43], v40 offset0:56 offset1:152
	;; [unrolled: 1-line block ×3, first 2 shown]
	ds_read_b64 v[52:53], v107 offset:5056
	s_waitcnt lgkmcnt(2)
	v_mov_b32_e32 v46, v40
	v_mov_b32_e32 v47, v41
.LBB0_7:
	s_or_b64 exec, exec, s[4:5]
	s_waitcnt lgkmcnt(3)
	v_mul_f32_e32 v40, v29, v15
	v_fmac_f32_e32 v40, v28, v14
	v_mul_f32_e32 v14, v29, v14
	v_fma_f32 v14, v28, v15, -v14
	s_waitcnt lgkmcnt(2)
	v_mul_f32_e32 v15, v31, v49
	v_mul_f32_e32 v28, v31, v48
	s_waitcnt lgkmcnt(1)
	v_mul_f32_e32 v31, v39, v25
	v_fmac_f32_e32 v31, v38, v24
	v_mul_f32_e32 v24, v39, v24
	v_fma_f32 v24, v38, v25, -v24
	v_mul_f32_e32 v25, v33, v27
	v_fmac_f32_e32 v25, v32, v26
	v_mul_f32_e32 v26, v33, v26
	v_fma_f32 v26, v32, v27, -v26
	s_waitcnt lgkmcnt(0)
	v_mul_f32_e32 v27, v35, v45
	v_mul_f32_e32 v32, v35, v44
	v_fmac_f32_e32 v15, v30, v48
	v_fma_f32 v28, v30, v49, -v28
	v_mul_f32_e32 v29, v37, v51
	v_mul_f32_e32 v30, v37, v50
	v_fmac_f32_e32 v27, v34, v44
	v_fma_f32 v32, v34, v45, -v32
	v_fmac_f32_e32 v29, v36, v50
	v_fma_f32 v30, v36, v51, -v30
	v_add_f32_e32 v33, v40, v27
	v_add_f32_e32 v34, v14, v32
	v_sub_f32_e32 v14, v14, v32
	v_add_f32_e32 v32, v15, v25
	v_add_f32_e32 v35, v28, v26
	v_sub_f32_e32 v15, v15, v25
	v_sub_f32_e32 v25, v28, v26
	v_add_f32_e32 v26, v29, v31
	v_add_f32_e32 v28, v30, v24
	v_sub_f32_e32 v24, v24, v30
	v_add_f32_e32 v30, v32, v33
	v_sub_f32_e32 v29, v31, v29
	;; [unrolled: 2-line block ×3, first 2 shown]
	v_sub_f32_e32 v33, v33, v26
	v_sub_f32_e32 v32, v26, v32
	v_add_f32_e32 v26, v26, v30
	v_sub_f32_e32 v37, v35, v34
	v_sub_f32_e32 v34, v34, v28
	;; [unrolled: 1-line block ×3, first 2 shown]
	v_add_f32_e32 v28, v28, v31
	v_add_f32_e32 v12, v12, v26
	v_sub_f32_e32 v27, v40, v27
	v_add_f32_e32 v38, v29, v15
	v_add_f32_e32 v39, v24, v25
	v_sub_f32_e32 v40, v29, v15
	v_sub_f32_e32 v41, v24, v25
	v_add_f32_e32 v13, v13, v28
	v_mov_b32_e32 v44, v12
	v_sub_f32_e32 v29, v27, v29
	v_sub_f32_e32 v24, v14, v24
	v_sub_f32_e32 v15, v15, v27
	v_sub_f32_e32 v25, v25, v14
	v_add_f32_e32 v27, v38, v27
	v_add_f32_e32 v14, v39, v14
	v_mul_f32_e32 v30, 0x3f4a47b2, v33
	v_mul_f32_e32 v31, 0x3f4a47b2, v34
	;; [unrolled: 1-line block ×6, first 2 shown]
	s_mov_b32 s6, 0xbf5ff5aa
	v_fmac_f32_e32 v44, 0xbf955555, v26
	v_mov_b32_e32 v26, v13
	s_mov_b32 s7, 0x3f3bfb3b
	s_mov_b32 s12, 0xbf3bfb3b
	v_mul_f32_e32 v40, 0xbf5ff5aa, v15
	v_mul_f32_e32 v41, 0xbf5ff5aa, v25
	v_fmac_f32_e32 v26, 0xbf955555, v28
	v_fma_f32 v28, v36, s7, -v33
	v_fma_f32 v33, v37, s7, -v34
	;; [unrolled: 1-line block ×3, first 2 shown]
	v_fmac_f32_e32 v30, 0x3d64c772, v32
	v_fma_f32 v32, v37, s12, -v31
	v_fmac_f32_e32 v31, 0x3d64c772, v35
	v_fma_f32 v35, v15, s6, -v38
	;; [unrolled: 2-line block ×3, first 2 shown]
	v_fmac_f32_e32 v39, 0xbeae86e6, v24
	s_mov_b32 s13, 0x3eae86e6
	v_fma_f32 v37, v29, s13, -v40
	v_fma_f32 v40, v24, s13, -v41
	v_add_f32_e32 v41, v30, v44
	v_add_f32_e32 v45, v31, v26
	v_fmac_f32_e32 v38, 0xbee1c552, v27
	v_fmac_f32_e32 v39, 0xbee1c552, v14
	v_add_f32_e32 v28, v28, v44
	v_add_f32_e32 v29, v33, v26
	;; [unrolled: 1-line block ×4, first 2 shown]
	v_fmac_f32_e32 v35, 0xbee1c552, v27
	v_fmac_f32_e32 v36, 0xbee1c552, v14
	;; [unrolled: 1-line block ×4, first 2 shown]
	v_add_f32_e32 v14, v39, v41
	v_sub_f32_e32 v15, v45, v38
	v_add_f32_e32 v24, v40, v30
	v_sub_f32_e32 v25, v31, v37
	v_sub_f32_e32 v26, v28, v36
	v_add_f32_e32 v27, v35, v29
	v_add_f32_e32 v28, v36, v28
	v_sub_f32_e32 v29, v29, v35
	v_sub_f32_e32 v30, v30, v40
	v_add_f32_e32 v31, v37, v31
	v_sub_f32_e32 v32, v41, v39
	v_add_f32_e32 v33, v38, v45
	ds_write2_b64 v107, v[12:13], v[14:15] offset1:96
	ds_write2_b64 v55, v[24:25], v[26:27] offset0:64 offset1:160
	ds_write2_b64 v54, v[28:29], v[30:31] offset0:128 offset1:224
	ds_write_b64 v107, v[32:33] offset:4608
	s_and_saveexec_b64 s[4:5], s[0:1]
	s_cbranch_execz .LBB0_9
; %bb.8:
	v_mul_f32_e32 v12, v9, v3
	v_mul_f32_e32 v13, v19, v53
	;; [unrolled: 1-line block ×4, first 2 shown]
	v_fmac_f32_e32 v12, v8, v2
	v_fmac_f32_e32 v13, v18, v52
	;; [unrolled: 1-line block ×4, first 2 shown]
	v_sub_f32_e32 v14, v12, v13
	v_mul_f32_e32 v27, v11, v5
	v_mul_f32_e32 v28, v17, v43
	v_mul_f32_e32 v2, v9, v2
	v_add_f32_e32 v12, v13, v12
	v_add_f32_e32 v13, v15, v24
	v_sub_f32_e32 v25, v15, v24
	v_fmac_f32_e32 v27, v10, v4
	v_fmac_f32_e32 v28, v16, v42
	v_mul_f32_e32 v19, v19, v52
	v_fma_f32 v2, v8, v3, -v2
	v_mul_f32_e32 v3, v21, v6
	v_sub_f32_e32 v15, v12, v13
	v_fma_f32 v18, v18, v53, -v19
	v_fma_f32 v6, v20, v7, -v3
	v_mul_f32_e32 v3, v23, v46
	v_mul_f32_e32 v15, 0x3f4a47b2, v15
	v_add_f32_e32 v19, v28, v27
	v_fma_f32 v7, v22, v47, -v3
	v_sub_f32_e32 v20, v13, v19
	v_mov_b32_e32 v22, v15
	v_add_f32_e32 v8, v18, v2
	v_add_f32_e32 v3, v7, v6
	v_mul_f32_e32 v17, v17, v42
	v_mul_f32_e32 v4, v11, v4
	;; [unrolled: 1-line block ×3, first 2 shown]
	v_fmac_f32_e32 v22, 0x3d64c772, v20
	v_add_f32_e32 v20, v19, v12
	v_sub_f32_e32 v9, v8, v3
	v_fma_f32 v16, v16, v43, -v17
	v_fma_f32 v4, v10, v5, -v4
	v_add_f32_e32 v13, v13, v20
	v_mul_f32_e32 v9, 0x3f4a47b2, v9
	v_add_f32_e32 v5, v16, v4
	v_add_f32_e32 v0, v0, v13
	v_sub_f32_e32 v10, v3, v5
	v_mov_b32_e32 v17, v9
	v_mov_b32_e32 v20, v0
	v_mul_f32_e32 v11, 0x3d64c772, v10
	v_fmac_f32_e32 v17, 0x3d64c772, v10
	v_add_f32_e32 v10, v5, v8
	v_fmac_f32_e32 v20, 0xbf955555, v13
	v_sub_f32_e32 v13, v2, v18
	v_sub_f32_e32 v2, v7, v6
	;; [unrolled: 1-line block ×4, first 2 shown]
	v_add_f32_e32 v3, v3, v10
	v_sub_f32_e32 v6, v13, v2
	v_sub_f32_e32 v7, v2, v4
	v_add_f32_e32 v2, v2, v4
	v_sub_f32_e32 v30, v25, v29
	v_add_f32_e32 v1, v1, v3
	v_mul_f32_e32 v16, 0x3f08b237, v7
	v_add_f32_e32 v23, v2, v13
	v_sub_f32_e32 v8, v5, v8
	v_sub_f32_e32 v13, v4, v13
	v_mul_f32_e32 v30, 0x3f08b237, v30
	v_mov_b32_e32 v10, v1
	v_mov_b32_e32 v18, v16
	v_fma_f32 v5, v8, s12, -v9
	v_sub_f32_e32 v9, v19, v12
	v_mul_f32_e32 v4, 0xbf5ff5aa, v13
	v_sub_f32_e32 v26, v14, v25
	v_mov_b32_e32 v31, v30
	v_add_f32_e32 v25, v25, v29
	v_fmac_f32_e32 v10, 0xbf955555, v3
	v_fmac_f32_e32 v18, 0xbeae86e6, v6
	v_sub_f32_e32 v7, v29, v14
	v_fma_f32 v12, v9, s12, -v15
	v_fma_f32 v15, v6, s13, -v4
	;; [unrolled: 1-line block ×3, first 2 shown]
	v_fmac_f32_e32 v31, 0xbeae86e6, v26
	v_add_f32_e32 v25, v25, v14
	v_add_f32_e32 v17, v17, v10
	v_mul_f32_e32 v14, 0xbf5ff5aa, v7
	v_add_f32_e32 v24, v5, v10
	v_add_f32_e32 v8, v6, v10
	v_fma_f32 v10, v7, s6, -v30
	v_fma_f32 v11, v13, s6, -v16
	;; [unrolled: 1-line block ×3, first 2 shown]
	v_fmac_f32_e32 v31, 0xbee1c552, v25
	v_add_f32_e32 v22, v22, v20
	v_fmac_f32_e32 v18, 0xbee1c552, v23
	v_fma_f32 v14, v26, s13, -v14
	v_add_f32_e32 v12, v12, v20
	v_fmac_f32_e32 v15, 0xbee1c552, v23
	v_fmac_f32_e32 v10, 0xbee1c552, v25
	;; [unrolled: 1-line block ×3, first 2 shown]
	v_add_f32_e32 v13, v6, v20
	v_fmac_f32_e32 v14, 0xbee1c552, v25
	v_sub_f32_e32 v4, v12, v15
	v_sub_f32_e32 v7, v8, v10
	v_add_f32_e32 v6, v11, v13
	v_add_f32_e32 v9, v10, v8
	v_sub_f32_e32 v8, v13, v11
	v_add_f32_e32 v10, v15, v12
	v_sub_f32_e32 v13, v17, v31
	;; [unrolled: 2-line block ×3, first 2 shown]
	ds_write2_b64 v107, v[0:1], v[12:13] offset0:56 offset1:152
	v_add_u32_e32 v0, 0x400, v107
	v_add_f32_e32 v5, v14, v24
	ds_write2_b64 v0, v[10:11], v[8:9] offset0:120 offset1:216
	v_add_u32_e32 v0, 0xc00, v107
	v_add_f32_e32 v3, v31, v17
	v_sub_f32_e32 v2, v22, v18
	ds_write2_b64 v0, v[6:7], v[4:5] offset0:56 offset1:152
	ds_write_b64 v107, v[2:3] offset:5056
.LBB0_9:
	s_or_b64 exec, exec, s[4:5]
	s_waitcnt lgkmcnt(0)
	; wave barrier
	s_waitcnt lgkmcnt(0)
	ds_read2_b64 v[0:3], v107 offset1:56
	v_mad_u64_u32 v[8:9], s[0:1], s10, v76, 0
	s_mov_b32 s0, 0x18618618
	s_mov_b32 s1, 0x3f586186
	s_waitcnt lgkmcnt(0)
	v_mul_f32_e32 v4, v86, v1
	v_fmac_f32_e32 v4, v85, v0
	v_cvt_f64_f32_e32 v[4:5], v4
	v_mul_f32_e32 v0, v86, v0
	v_fma_f32 v0, v85, v1, -v0
	v_cvt_f64_f32_e32 v[0:1], v0
	v_mul_f64 v[4:5], v[4:5], s[0:1]
	v_mad_u64_u32 v[10:11], s[4:5], s8, v109, 0
	v_mov_b32_e32 v6, v9
	v_mad_u64_u32 v[6:7], s[4:5], s11, v76, v[6:7]
	v_mul_f64 v[0:1], v[0:1], s[0:1]
	v_cvt_f32_f64_e32 v12, v[4:5]
	v_mov_b32_e32 v4, v11
	v_mad_u64_u32 v[14:15], s[4:5], s9, v109, v[4:5]
	v_add_u32_e32 v15, 0x800, v107
	v_mov_b32_e32 v9, v6
	ds_read2_b64 v[4:7], v15 offset0:80 offset1:136
	v_cvt_f32_f64_e32 v13, v[0:1]
	v_lshlrev_b64 v[0:1], 3, v[8:9]
	v_mov_b32_e32 v11, v14
	v_mov_b32_e32 v14, s3
	s_waitcnt lgkmcnt(0)
	v_mul_f32_e32 v8, v88, v5
	v_fmac_f32_e32 v8, v87, v4
	v_mul_f32_e32 v4, v88, v4
	v_fma_f32 v4, v87, v5, -v4
	v_cvt_f64_f32_e32 v[8:9], v8
	v_cvt_f64_f32_e32 v[4:5], v4
	v_add_co_u32_e32 v16, vcc, s2, v0
	v_addc_co_u32_e32 v17, vcc, v14, v1, vcc
	v_mul_f64 v[0:1], v[8:9], s[0:1]
	v_mul_f64 v[4:5], v[4:5], s[0:1]
	v_lshlrev_b64 v[8:9], 3, v[10:11]
	s_mul_i32 s2, s9, 0xa80
	v_add_co_u32_e32 v8, vcc, v16, v8
	s_mul_hi_u32 s3, s8, 0xa80
	v_addc_co_u32_e32 v9, vcc, v17, v9, vcc
	v_cvt_f32_f64_e32 v0, v[0:1]
	v_cvt_f32_f64_e32 v1, v[4:5]
	v_mul_f32_e32 v4, v90, v3
	v_fmac_f32_e32 v4, v89, v2
	v_mul_f32_e32 v2, v90, v2
	v_fma_f32 v2, v89, v3, -v2
	v_cvt_f64_f32_e32 v[4:5], v4
	v_cvt_f64_f32_e32 v[2:3], v2
	s_add_i32 s2, s3, s2
	s_mul_i32 s3, s8, 0xa80
	global_store_dwordx2 v[8:9], v[12:13], off
	v_mov_b32_e32 v10, s2
	v_add_co_u32_e32 v8, vcc, s3, v8
	v_addc_co_u32_e32 v9, vcc, v9, v10, vcc
	v_mul_f64 v[4:5], v[4:5], s[0:1]
	v_mul_f64 v[2:3], v[2:3], s[0:1]
	global_store_dwordx2 v[8:9], v[0:1], off
	v_mul_f32_e32 v0, v82, v7
	v_fmac_f32_e32 v0, v81, v6
	v_cvt_f64_f32_e32 v[0:1], v0
	s_mul_hi_u32 s5, s8, 0xfffff740
	s_mul_i32 s4, s9, 0xfffff740
	v_cvt_f32_f64_e32 v4, v[4:5]
	v_mul_f64 v[10:11], v[0:1], s[0:1]
	v_mul_f32_e32 v0, v82, v6
	v_fma_f32 v0, v81, v7, -v0
	v_cvt_f32_f64_e32 v5, v[2:3]
	v_cvt_f64_f32_e32 v[6:7], v0
	ds_read2_b64 v[0:3], v107 offset0:112 offset1:168
	s_sub_i32 s5, s5, s8
	s_add_i32 s4, s5, s4
	s_mul_i32 s5, s8, 0xfffff740
	v_mov_b32_e32 v12, s4
	v_add_co_u32_e32 v8, vcc, s5, v8
	v_addc_co_u32_e32 v9, vcc, v9, v12, vcc
	global_store_dwordx2 v[8:9], v[4:5], off
	v_mul_f64 v[4:5], v[6:7], s[0:1]
	s_waitcnt lgkmcnt(0)
	v_mul_f32_e32 v6, v84, v1
	v_fmac_f32_e32 v6, v83, v0
	v_mul_f32_e32 v0, v84, v0
	v_fma_f32 v0, v83, v1, -v0
	v_cvt_f64_f32_e32 v[0:1], v0
	v_cvt_f64_f32_e32 v[6:7], v6
	v_cvt_f32_f64_e32 v10, v[10:11]
	v_cvt_f32_f64_e32 v11, v[4:5]
	v_mul_f64 v[0:1], v[0:1], s[0:1]
	v_mov_b32_e32 v4, s2
	v_add_co_u32_e32 v8, vcc, s3, v8
	v_mul_f64 v[12:13], v[6:7], s[0:1]
	v_addc_co_u32_e32 v9, vcc, v9, v4, vcc
	ds_read2_b64 v[4:7], v15 offset0:192 offset1:248
	global_store_dwordx2 v[8:9], v[10:11], off
	v_cvt_f32_f64_e32 v11, v[0:1]
	v_add_co_u32_e32 v8, vcc, s5, v8
	s_waitcnt lgkmcnt(0)
	v_mul_f32_e32 v0, v80, v5
	v_fmac_f32_e32 v0, v79, v4
	v_cvt_f64_f32_e32 v[0:1], v0
	v_mul_f32_e32 v4, v80, v4
	v_fma_f32 v4, v79, v5, -v4
	v_cvt_f64_f32_e32 v[4:5], v4
	v_mul_f64 v[0:1], v[0:1], s[0:1]
	v_cvt_f32_f64_e32 v10, v[12:13]
	v_mov_b32_e32 v12, s4
	v_addc_co_u32_e32 v9, vcc, v9, v12, vcc
	v_mad_u64_u32 v[12:13], s[6:7], s8, v108, 0
	v_mul_f64 v[4:5], v[4:5], s[0:1]
	v_cvt_f32_f64_e32 v0, v[0:1]
	v_mov_b32_e32 v1, v13
	global_store_dwordx2 v[8:9], v[10:11], off
	v_mad_u64_u32 v[10:11], s[6:7], s9, v108, v[1:2]
	v_mul_f32_e32 v1, v78, v3
	v_fmac_f32_e32 v1, v77, v2
	v_mul_f32_e32 v2, v78, v2
	v_mov_b32_e32 v13, v10
	v_fma_f32 v2, v77, v3, -v2
	v_cvt_f64_f32_e32 v[14:15], v1
	v_cvt_f32_f64_e32 v1, v[4:5]
	v_lshlrev_b64 v[4:5], 3, v[12:13]
	v_cvt_f64_f32_e32 v[2:3], v2
	v_add_co_u32_e32 v4, vcc, v16, v4
	v_addc_co_u32_e32 v5, vcc, v17, v5, vcc
	v_mul_f64 v[10:11], v[14:15], s[0:1]
	global_store_dwordx2 v[4:5], v[0:1], off
	v_mul_f64 v[0:1], v[2:3], s[0:1]
	v_mul_f32_e32 v5, v75, v6
	v_mul_f32_e32 v2, v75, v7
	v_fma_f32 v5, v74, v7, -v5
	v_fmac_f32_e32 v2, v74, v6
	v_cvt_f64_f32_e32 v[5:6], v5
	v_cvt_f64_f32_e32 v[2:3], v2
	v_cvt_f32_f64_e32 v4, v[10:11]
	v_mov_b32_e32 v10, 0x1c0
	v_mul_f64 v[6:7], v[5:6], s[0:1]
	v_cvt_f32_f64_e32 v5, v[0:1]
	v_add_u32_e32 v0, 0x400, v107
	v_mad_u64_u32 v[8:9], s[6:7], s8, v10, v[8:9]
	v_mul_f64 v[10:11], v[2:3], s[0:1]
	ds_read2_b64 v[0:3], v0 offset0:96 offset1:152
	s_mul_i32 s6, s9, 0x1c0
	v_add_u32_e32 v9, s6, v9
	global_store_dwordx2 v[8:9], v[4:5], off
	v_mov_b32_e32 v14, s2
	s_waitcnt lgkmcnt(0)
	v_mul_f32_e32 v4, v73, v1
	v_fmac_f32_e32 v4, v72, v0
	v_mul_f32_e32 v0, v73, v0
	v_cvt_f64_f32_e32 v[12:13], v4
	v_fma_f32 v0, v72, v1, -v0
	v_add_u32_e32 v4, 0x1000, v107
	v_cvt_f32_f64_e32 v10, v[10:11]
	v_cvt_f32_f64_e32 v11, v[6:7]
	v_cvt_f64_f32_e32 v[0:1], v0
	ds_read2_b64 v[4:7], v4 offset0:48 offset1:104
	v_add_co_u32_e32 v8, vcc, s3, v8
	v_addc_co_u32_e32 v9, vcc, v9, v14, vcc
	global_store_dwordx2 v[8:9], v[10:11], off
	v_mul_f64 v[10:11], v[12:13], s[0:1]
	v_mul_f64 v[0:1], v[0:1], s[0:1]
	s_waitcnt lgkmcnt(0)
	v_mul_f32_e32 v12, v71, v5
	v_fmac_f32_e32 v12, v70, v4
	v_mul_f32_e32 v4, v71, v4
	v_fma_f32 v4, v70, v5, -v4
	v_cvt_f64_f32_e32 v[12:13], v12
	v_cvt_f64_f32_e32 v[4:5], v4
	v_cvt_f32_f64_e32 v10, v[10:11]
	v_cvt_f32_f64_e32 v11, v[0:1]
	v_mul_f64 v[0:1], v[12:13], s[0:1]
	v_mul_f64 v[4:5], v[4:5], s[0:1]
	v_mov_b32_e32 v12, s4
	v_add_co_u32_e32 v8, vcc, s5, v8
	v_addc_co_u32_e32 v9, vcc, v9, v12, vcc
	global_store_dwordx2 v[8:9], v[10:11], off
	v_cvt_f32_f64_e32 v0, v[0:1]
	v_cvt_f32_f64_e32 v1, v[4:5]
	v_mul_f32_e32 v4, v69, v3
	v_fmac_f32_e32 v4, v68, v2
	v_mul_f32_e32 v2, v69, v2
	v_fma_f32 v2, v68, v3, -v2
	v_cvt_f64_f32_e32 v[4:5], v4
	v_cvt_f64_f32_e32 v[2:3], v2
	v_mov_b32_e32 v10, s2
	v_add_co_u32_e32 v8, vcc, s3, v8
	v_addc_co_u32_e32 v9, vcc, v9, v10, vcc
	global_store_dwordx2 v[8:9], v[0:1], off
	v_mul_f64 v[0:1], v[4:5], s[0:1]
	v_mul_f64 v[2:3], v[2:3], s[0:1]
	v_mul_f32_e32 v4, v67, v7
	v_fmac_f32_e32 v4, v66, v6
	v_mul_f32_e32 v6, v67, v6
	v_fma_f32 v6, v66, v7, -v6
	v_cvt_f64_f32_e32 v[4:5], v4
	v_cvt_f64_f32_e32 v[6:7], v6
	v_cvt_f32_f64_e32 v0, v[0:1]
	v_cvt_f32_f64_e32 v1, v[2:3]
	v_mul_f64 v[2:3], v[4:5], s[0:1]
	v_mul_f64 v[4:5], v[6:7], s[0:1]
	v_mov_b32_e32 v7, s4
	v_add_co_u32_e32 v6, vcc, s5, v8
	v_addc_co_u32_e32 v7, vcc, v9, v7, vcc
	global_store_dwordx2 v[6:7], v[0:1], off
	v_cvt_f32_f64_e32 v0, v[2:3]
	v_cvt_f32_f64_e32 v1, v[4:5]
	v_mov_b32_e32 v3, s2
	v_add_co_u32_e32 v2, vcc, s3, v6
	v_addc_co_u32_e32 v3, vcc, v7, v3, vcc
	global_store_dwordx2 v[2:3], v[0:1], off
.LBB0_10:
	s_endpgm
	.section	.rodata,"a",@progbits
	.p2align	6, 0x0
	.amdhsa_kernel bluestein_single_fwd_len672_dim1_sp_op_CI_CI
		.amdhsa_group_segment_fixed_size 5376
		.amdhsa_private_segment_fixed_size 0
		.amdhsa_kernarg_size 104
		.amdhsa_user_sgpr_count 6
		.amdhsa_user_sgpr_private_segment_buffer 1
		.amdhsa_user_sgpr_dispatch_ptr 0
		.amdhsa_user_sgpr_queue_ptr 0
		.amdhsa_user_sgpr_kernarg_segment_ptr 1
		.amdhsa_user_sgpr_dispatch_id 0
		.amdhsa_user_sgpr_flat_scratch_init 0
		.amdhsa_user_sgpr_private_segment_size 0
		.amdhsa_uses_dynamic_stack 0
		.amdhsa_system_sgpr_private_segment_wavefront_offset 0
		.amdhsa_system_sgpr_workgroup_id_x 1
		.amdhsa_system_sgpr_workgroup_id_y 0
		.amdhsa_system_sgpr_workgroup_id_z 0
		.amdhsa_system_sgpr_workgroup_info 0
		.amdhsa_system_vgpr_workitem_id 0
		.amdhsa_next_free_vgpr 177
		.amdhsa_next_free_sgpr 20
		.amdhsa_reserve_vcc 1
		.amdhsa_reserve_flat_scratch 0
		.amdhsa_float_round_mode_32 0
		.amdhsa_float_round_mode_16_64 0
		.amdhsa_float_denorm_mode_32 3
		.amdhsa_float_denorm_mode_16_64 3
		.amdhsa_dx10_clamp 1
		.amdhsa_ieee_mode 1
		.amdhsa_fp16_overflow 0
		.amdhsa_exception_fp_ieee_invalid_op 0
		.amdhsa_exception_fp_denorm_src 0
		.amdhsa_exception_fp_ieee_div_zero 0
		.amdhsa_exception_fp_ieee_overflow 0
		.amdhsa_exception_fp_ieee_underflow 0
		.amdhsa_exception_fp_ieee_inexact 0
		.amdhsa_exception_int_div_zero 0
	.end_amdhsa_kernel
	.text
.Lfunc_end0:
	.size	bluestein_single_fwd_len672_dim1_sp_op_CI_CI, .Lfunc_end0-bluestein_single_fwd_len672_dim1_sp_op_CI_CI
                                        ; -- End function
	.section	.AMDGPU.csdata,"",@progbits
; Kernel info:
; codeLenInByte = 11244
; NumSgprs: 24
; NumVgprs: 177
; ScratchSize: 0
; MemoryBound: 0
; FloatMode: 240
; IeeeMode: 1
; LDSByteSize: 5376 bytes/workgroup (compile time only)
; SGPRBlocks: 2
; VGPRBlocks: 44
; NumSGPRsForWavesPerEU: 24
; NumVGPRsForWavesPerEU: 177
; Occupancy: 1
; WaveLimiterHint : 1
; COMPUTE_PGM_RSRC2:SCRATCH_EN: 0
; COMPUTE_PGM_RSRC2:USER_SGPR: 6
; COMPUTE_PGM_RSRC2:TRAP_HANDLER: 0
; COMPUTE_PGM_RSRC2:TGID_X_EN: 1
; COMPUTE_PGM_RSRC2:TGID_Y_EN: 0
; COMPUTE_PGM_RSRC2:TGID_Z_EN: 0
; COMPUTE_PGM_RSRC2:TIDIG_COMP_CNT: 0
	.type	__hip_cuid_278e8df3ac084b3,@object ; @__hip_cuid_278e8df3ac084b3
	.section	.bss,"aw",@nobits
	.globl	__hip_cuid_278e8df3ac084b3
__hip_cuid_278e8df3ac084b3:
	.byte	0                               ; 0x0
	.size	__hip_cuid_278e8df3ac084b3, 1

	.ident	"AMD clang version 19.0.0git (https://github.com/RadeonOpenCompute/llvm-project roc-6.4.0 25133 c7fe45cf4b819c5991fe208aaa96edf142730f1d)"
	.section	".note.GNU-stack","",@progbits
	.addrsig
	.addrsig_sym __hip_cuid_278e8df3ac084b3
	.amdgpu_metadata
---
amdhsa.kernels:
  - .args:
      - .actual_access:  read_only
        .address_space:  global
        .offset:         0
        .size:           8
        .value_kind:     global_buffer
      - .actual_access:  read_only
        .address_space:  global
        .offset:         8
        .size:           8
        .value_kind:     global_buffer
      - .actual_access:  read_only
        .address_space:  global
        .offset:         16
        .size:           8
        .value_kind:     global_buffer
      - .actual_access:  read_only
        .address_space:  global
        .offset:         24
        .size:           8
        .value_kind:     global_buffer
      - .actual_access:  read_only
        .address_space:  global
        .offset:         32
        .size:           8
        .value_kind:     global_buffer
      - .offset:         40
        .size:           8
        .value_kind:     by_value
      - .address_space:  global
        .offset:         48
        .size:           8
        .value_kind:     global_buffer
      - .address_space:  global
        .offset:         56
        .size:           8
        .value_kind:     global_buffer
      - .address_space:  global
        .offset:         64
        .size:           8
        .value_kind:     global_buffer
      - .address_space:  global
        .offset:         72
        .size:           8
        .value_kind:     global_buffer
      - .offset:         80
        .size:           4
        .value_kind:     by_value
      - .address_space:  global
        .offset:         88
        .size:           8
        .value_kind:     global_buffer
      - .address_space:  global
        .offset:         96
        .size:           8
        .value_kind:     global_buffer
    .group_segment_fixed_size: 5376
    .kernarg_segment_align: 8
    .kernarg_segment_size: 104
    .language:       OpenCL C
    .language_version:
      - 2
      - 0
    .max_flat_workgroup_size: 56
    .name:           bluestein_single_fwd_len672_dim1_sp_op_CI_CI
    .private_segment_fixed_size: 0
    .sgpr_count:     24
    .sgpr_spill_count: 0
    .symbol:         bluestein_single_fwd_len672_dim1_sp_op_CI_CI.kd
    .uniform_work_group_size: 1
    .uses_dynamic_stack: false
    .vgpr_count:     177
    .vgpr_spill_count: 0
    .wavefront_size: 64
amdhsa.target:   amdgcn-amd-amdhsa--gfx906
amdhsa.version:
  - 1
  - 2
...

	.end_amdgpu_metadata
